;; amdgpu-corpus repo=zjin-lcf/HeCBench kind=compiled arch=gfx90a opt=O3
	.text
	.amdgcn_target "amdgcn-amd-amdhsa--gfx90a"
	.amdhsa_code_object_version 6
	.protected	_Z6init_xPfii           ; -- Begin function _Z6init_xPfii
	.globl	_Z6init_xPfii
	.p2align	8
	.type	_Z6init_xPfii,@function
_Z6init_xPfii:                          ; @_Z6init_xPfii
; %bb.0:
	s_load_dword s2, s[4:5], 0x1c
	s_load_dwordx2 s[0:1], s[4:5], 0x8
	s_waitcnt lgkmcnt(0)
	s_and_b32 s2, s2, 0xffff
	s_mul_i32 s6, s6, s2
	v_add_u32_e32 v0, s6, v0
	s_mul_i32 s0, s1, s0
	v_cmp_gt_i32_e32 vcc, s0, v0
	s_and_saveexec_b64 s[2:3], vcc
	s_cbranch_execz .LBB0_2
; %bb.1:
	s_abs_i32 s2, s1
	v_cvt_f32_u32_e32 v1, s2
	s_sub_i32 s3, 0, s2
	v_sub_u32_e32 v5, 0, v0
	s_load_dwordx2 s[0:1], s[4:5], 0x0
	v_rcp_iflag_f32_e32 v4, v1
	v_ashrrev_i32_e32 v1, 31, v0
	v_lshlrev_b64 v[2:3], 2, v[0:1]
	v_max_i32_e32 v0, v0, v5
	v_mul_f32_e32 v4, 0x4f7ffffe, v4
	v_cvt_u32_f32_e32 v4, v4
	s_waitcnt lgkmcnt(0)
	v_mov_b32_e32 v5, s1
	v_mul_lo_u32 v6, s3, v4
	v_mul_hi_u32 v6, v4, v6
	v_add_u32_e32 v4, v4, v6
	v_mul_hi_u32 v4, v0, v4
	v_mul_lo_u32 v4, v4, s2
	v_sub_u32_e32 v0, v0, v4
	v_subrev_u32_e32 v4, s2, v0
	v_cmp_le_u32_e32 vcc, s2, v0
	v_cndmask_b32_e32 v0, v0, v4, vcc
	v_subrev_u32_e32 v4, s2, v0
	v_cmp_le_u32_e32 vcc, s2, v0
	v_cndmask_b32_e32 v0, v0, v4, vcc
	v_xor_b32_e32 v0, v0, v1
	v_sub_u32_e32 v0, v0, v1
	v_cvt_f32_i32_e32 v4, v0
	v_add_co_u32_e32 v0, vcc, s0, v2
	v_addc_co_u32_e32 v1, vcc, v5, v3, vcc
	global_store_dword v[0:1], v4, off
.LBB0_2:
	s_endpgm
	.section	.rodata,"a",@progbits
	.p2align	6, 0x0
	.amdhsa_kernel _Z6init_xPfii
		.amdhsa_group_segment_fixed_size 0
		.amdhsa_private_segment_fixed_size 0
		.amdhsa_kernarg_size 272
		.amdhsa_user_sgpr_count 6
		.amdhsa_user_sgpr_private_segment_buffer 1
		.amdhsa_user_sgpr_dispatch_ptr 0
		.amdhsa_user_sgpr_queue_ptr 0
		.amdhsa_user_sgpr_kernarg_segment_ptr 1
		.amdhsa_user_sgpr_dispatch_id 0
		.amdhsa_user_sgpr_flat_scratch_init 0
		.amdhsa_user_sgpr_kernarg_preload_length 0
		.amdhsa_user_sgpr_kernarg_preload_offset 0
		.amdhsa_user_sgpr_private_segment_size 0
		.amdhsa_uses_dynamic_stack 0
		.amdhsa_system_sgpr_private_segment_wavefront_offset 0
		.amdhsa_system_sgpr_workgroup_id_x 1
		.amdhsa_system_sgpr_workgroup_id_y 0
		.amdhsa_system_sgpr_workgroup_id_z 0
		.amdhsa_system_sgpr_workgroup_info 0
		.amdhsa_system_vgpr_workitem_id 0
		.amdhsa_next_free_vgpr 7
		.amdhsa_next_free_sgpr 7
		.amdhsa_accum_offset 8
		.amdhsa_reserve_vcc 1
		.amdhsa_reserve_flat_scratch 0
		.amdhsa_float_round_mode_32 0
		.amdhsa_float_round_mode_16_64 0
		.amdhsa_float_denorm_mode_32 3
		.amdhsa_float_denorm_mode_16_64 3
		.amdhsa_dx10_clamp 1
		.amdhsa_ieee_mode 1
		.amdhsa_fp16_overflow 0
		.amdhsa_tg_split 0
		.amdhsa_exception_fp_ieee_invalid_op 0
		.amdhsa_exception_fp_denorm_src 0
		.amdhsa_exception_fp_ieee_div_zero 0
		.amdhsa_exception_fp_ieee_overflow 0
		.amdhsa_exception_fp_ieee_underflow 0
		.amdhsa_exception_fp_ieee_inexact 0
		.amdhsa_exception_int_div_zero 0
	.end_amdhsa_kernel
	.text
.Lfunc_end0:
	.size	_Z6init_xPfii, .Lfunc_end0-_Z6init_xPfii
                                        ; -- End function
	.section	.AMDGPU.csdata,"",@progbits
; Kernel info:
; codeLenInByte = 212
; NumSgprs: 11
; NumVgprs: 7
; NumAgprs: 0
; TotalNumVgprs: 7
; ScratchSize: 0
; MemoryBound: 0
; FloatMode: 240
; IeeeMode: 1
; LDSByteSize: 0 bytes/workgroup (compile time only)
; SGPRBlocks: 1
; VGPRBlocks: 0
; NumSGPRsForWavesPerEU: 11
; NumVGPRsForWavesPerEU: 7
; AccumOffset: 8
; Occupancy: 8
; WaveLimiterHint : 0
; COMPUTE_PGM_RSRC2:SCRATCH_EN: 0
; COMPUTE_PGM_RSRC2:USER_SGPR: 6
; COMPUTE_PGM_RSRC2:TRAP_HANDLER: 0
; COMPUTE_PGM_RSRC2:TGID_X_EN: 1
; COMPUTE_PGM_RSRC2:TGID_Y_EN: 0
; COMPUTE_PGM_RSRC2:TGID_Z_EN: 0
; COMPUTE_PGM_RSRC2:TIDIG_COMP_CNT: 0
; COMPUTE_PGM_RSRC3_GFX90A:ACCUM_OFFSET: 1
; COMPUTE_PGM_RSRC3_GFX90A:TG_SPLIT: 0
	.text
	.protected	_Z12shuffle_rowsPfiij   ; -- Begin function _Z12shuffle_rowsPfiij
	.globl	_Z12shuffle_rowsPfiij
	.p2align	8
	.type	_Z12shuffle_rowsPfiij,@function
_Z12shuffle_rowsPfiij:                  ; @_Z12shuffle_rowsPfiij
; %bb.0:
	s_load_dwordx4 s[0:3], s[4:5], 0x8
	s_waitcnt lgkmcnt(0)
	s_cmp_ge_i32 s6, s0
	s_cbranch_scc1 .LBB1_4
; %bb.1:
	s_cmp_lt_i32 s1, 2
	s_cbranch_scc1 .LBB1_4
; %bb.2:
	s_load_dwordx2 s[4:5], s[4:5], 0x0
	s_mul_i32 s8, s6, s1
	s_ashr_i32 s9, s8, 31
	s_lshl_b64 s[10:11], s[8:9], 2
	s_mov_b32 s3, 0
	s_waitcnt lgkmcnt(0)
	s_add_u32 s0, s4, s10
	s_addc_u32 s7, s5, s11
	s_xor_b32 s8, s6, s2
	s_add_i32 s2, s1, -1
	s_sub_i32 s6, 0, s1
	s_lshl_b64 s[12:13], s[2:3], 2
	s_add_u32 s2, s10, s12
	s_addc_u32 s9, s11, s13
	s_add_u32 s4, s4, s2
	s_addc_u32 s5, s5, s9
	v_mov_b32_e32 v0, 0
.LBB1_3:                                ; =>This Inner Loop Header: Depth=1
	v_cvt_f32_u32_e32 v1, s1
	s_lshl_b32 s2, s8, 13
	s_xor_b32 s2, s2, s8
	s_lshr_b32 s8, s2, 17
	v_rcp_iflag_f32_e32 v1, v1
	s_xor_b32 s2, s8, s2
	s_lshl_b32 s8, s2, 5
	s_xor_b32 s8, s8, s2
	v_mul_f32_e32 v1, 0x4f7ffffe, v1
	v_cvt_u32_f32_e32 v1, v1
	s_add_i32 s9, s1, -1
	v_readfirstlane_b32 s2, v1
	s_mul_i32 s10, s6, s2
	s_mul_hi_u32 s10, s2, s10
	s_add_i32 s2, s2, s10
	s_mul_hi_u32 s2, s8, s2
	s_mul_i32 s2, s2, s1
	s_sub_i32 s2, s8, s2
	s_sub_i32 s10, s2, s1
	s_cmp_ge_u32 s2, s1
	s_cselect_b32 s2, s10, s2
	s_add_i32 s10, s2, s6
	s_cmp_ge_u32 s2, s1
	s_cselect_b32 s2, s10, s2
	s_lshl_b64 s[10:11], s[2:3], 2
	s_add_u32 s10, s0, s10
	s_addc_u32 s11, s7, s11
	global_load_dword v1, v0, s[10:11]
	global_load_dword v2, v0, s[4:5]
	s_add_i32 s6, s6, 1
	s_waitcnt vmcnt(1)
	global_store_dword v0, v1, s[4:5]
	s_waitcnt vmcnt(1)
	global_store_dword v0, v2, s[10:11]
	s_add_u32 s4, s4, -4
	s_addc_u32 s5, s5, -1
	s_cmp_gt_u32 s1, 2
	s_mov_b32 s1, s9
	s_cbranch_scc1 .LBB1_3
.LBB1_4:
	s_endpgm
	.section	.rodata,"a",@progbits
	.p2align	6, 0x0
	.amdhsa_kernel _Z12shuffle_rowsPfiij
		.amdhsa_group_segment_fixed_size 0
		.amdhsa_private_segment_fixed_size 0
		.amdhsa_kernarg_size 20
		.amdhsa_user_sgpr_count 6
		.amdhsa_user_sgpr_private_segment_buffer 1
		.amdhsa_user_sgpr_dispatch_ptr 0
		.amdhsa_user_sgpr_queue_ptr 0
		.amdhsa_user_sgpr_kernarg_segment_ptr 1
		.amdhsa_user_sgpr_dispatch_id 0
		.amdhsa_user_sgpr_flat_scratch_init 0
		.amdhsa_user_sgpr_kernarg_preload_length 0
		.amdhsa_user_sgpr_kernarg_preload_offset 0
		.amdhsa_user_sgpr_private_segment_size 0
		.amdhsa_uses_dynamic_stack 0
		.amdhsa_system_sgpr_private_segment_wavefront_offset 0
		.amdhsa_system_sgpr_workgroup_id_x 1
		.amdhsa_system_sgpr_workgroup_id_y 0
		.amdhsa_system_sgpr_workgroup_id_z 0
		.amdhsa_system_sgpr_workgroup_info 0
		.amdhsa_system_vgpr_workitem_id 0
		.amdhsa_next_free_vgpr 3
		.amdhsa_next_free_sgpr 14
		.amdhsa_accum_offset 4
		.amdhsa_reserve_vcc 0
		.amdhsa_reserve_flat_scratch 0
		.amdhsa_float_round_mode_32 0
		.amdhsa_float_round_mode_16_64 0
		.amdhsa_float_denorm_mode_32 3
		.amdhsa_float_denorm_mode_16_64 3
		.amdhsa_dx10_clamp 1
		.amdhsa_ieee_mode 1
		.amdhsa_fp16_overflow 0
		.amdhsa_tg_split 0
		.amdhsa_exception_fp_ieee_invalid_op 0
		.amdhsa_exception_fp_denorm_src 0
		.amdhsa_exception_fp_ieee_div_zero 0
		.amdhsa_exception_fp_ieee_overflow 0
		.amdhsa_exception_fp_ieee_underflow 0
		.amdhsa_exception_fp_ieee_inexact 0
		.amdhsa_exception_int_div_zero 0
	.end_amdhsa_kernel
	.text
.Lfunc_end1:
	.size	_Z12shuffle_rowsPfiij, .Lfunc_end1-_Z12shuffle_rowsPfiij
                                        ; -- End function
	.section	.AMDGPU.csdata,"",@progbits
; Kernel info:
; codeLenInByte = 280
; NumSgprs: 18
; NumVgprs: 3
; NumAgprs: 0
; TotalNumVgprs: 3
; ScratchSize: 0
; MemoryBound: 0
; FloatMode: 240
; IeeeMode: 1
; LDSByteSize: 0 bytes/workgroup (compile time only)
; SGPRBlocks: 2
; VGPRBlocks: 0
; NumSGPRsForWavesPerEU: 18
; NumVGPRsForWavesPerEU: 3
; AccumOffset: 4
; Occupancy: 8
; WaveLimiterHint : 0
; COMPUTE_PGM_RSRC2:SCRATCH_EN: 0
; COMPUTE_PGM_RSRC2:USER_SGPR: 6
; COMPUTE_PGM_RSRC2:TRAP_HANDLER: 0
; COMPUTE_PGM_RSRC2:TGID_X_EN: 1
; COMPUTE_PGM_RSRC2:TGID_Y_EN: 0
; COMPUTE_PGM_RSRC2:TGID_Z_EN: 0
; COMPUTE_PGM_RSRC2:TIDIG_COMP_CNT: 0
; COMPUTE_PGM_RSRC3_GFX90A:ACCUM_OFFSET: 0
; COMPUTE_PGM_RSRC3_GFX90A:TG_SPLIT: 0
	.section	.text._Z27radix_topk_one_block_kernelIfiLi11ELi1024ELb1ELb0EL5Phase0EEvPKT_PKT0_lS6_S6_S4_PS1_PS4_bPci,"axG",@progbits,_Z27radix_topk_one_block_kernelIfiLi11ELi1024ELb1ELb0EL5Phase0EEvPKT_PKT0_lS6_S6_S4_PS1_PS4_bPci,comdat
	.protected	_Z27radix_topk_one_block_kernelIfiLi11ELi1024ELb1ELb0EL5Phase0EEvPKT_PKT0_lS6_S6_S4_PS1_PS4_bPci ; -- Begin function _Z27radix_topk_one_block_kernelIfiLi11ELi1024ELb1ELb0EL5Phase0EEvPKT_PKT0_lS6_S6_S4_PS1_PS4_bPci
	.globl	_Z27radix_topk_one_block_kernelIfiLi11ELi1024ELb1ELb0EL5Phase0EEvPKT_PKT0_lS6_S6_S4_PS1_PS4_bPci
	.p2align	8
	.type	_Z27radix_topk_one_block_kernelIfiLi11ELi1024ELb1ELb0EL5Phase0EEvPKT_PKT0_lS6_S6_S4_PS1_PS4_bPci,@function
_Z27radix_topk_one_block_kernelIfiLi11ELi1024ELb1ELb0EL5Phase0EEvPKT_PKT0_lS6_S6_S4_PS1_PS4_bPci: ; @_Z27radix_topk_one_block_kernelIfiLi11ELi1024ELb1ELb0EL5Phase0EEvPKT_PKT0_lS6_S6_S4_PS1_PS4_bPci
; %bb.0:
	s_load_dwordx8 s[8:15], s[4:5], 0x0
	s_load_dwordx2 s[0:1], s[4:5], 0x20
	s_mov_b32 s7, 0
	s_waitcnt lgkmcnt(0)
	s_cmp_eq_u64 s[14:15], 0
	s_cselect_b64 s[2:3], -1, 0
	s_cmp_eq_u64 s[0:1], 0
	s_cselect_b64 s[16:17], -1, 0
	s_or_b64 s[2:3], s[2:3], s[16:17]
	s_and_b64 vcc, exec, s[2:3]
	s_mov_b32 s2, s12
	s_cbranch_vccnz .LBB2_2
; %bb.1:
	s_lshl_b64 s[2:3], s[6:7], 2
	s_add_u32 s0, s0, s2
	s_addc_u32 s1, s1, s3
	s_add_u32 s14, s14, s2
	s_addc_u32 s15, s15, s3
	s_load_dword s7, s[14:15], 0x0
	s_load_dword s2, s[0:1], 0x0
.LBB2_2:
	s_load_dword s33, s[4:5], 0x28
	s_waitcnt lgkmcnt(0)
	s_sub_i32 s57, s2, s7
	v_cmp_ne_u32_e64 s[0:1], 0, v0
	v_cmp_eq_u32_e64 s[2:3], 0, v0
	s_and_saveexec_b64 s[14:15], s[2:3]
	s_cbranch_execz .LBB2_4
; %bb.3:
	v_mov_b32_e32 v5, 0
	v_mov_b32_e32 v2, s33
	;; [unrolled: 1-line block ×4, first 2 shown]
	ds_write_b128 v5, v[2:5]
	ds_write2_b32 v5, v5, v5 offset0:96 offset1:128
.LBB2_4:
	s_or_b64 exec, exec, s[14:15]
	s_mul_i32 s13, s6, s13
	s_mul_hi_u32 s14, s6, s12
	s_add_i32 s15, s14, s13
	s_mul_i32 s14, s6, s12
	s_lshl_b64 s[20:21], s[14:15], 2
	s_load_dwordx4 s[16:19], s[4:5], 0x30
	s_add_u32 s14, s8, s20
	s_addc_u32 s15, s9, s21
	s_ashr_i32 s8, s33, 31
	s_mul_hi_u32 s9, s33, s6
	s_mul_i32 s8, s8, s6
	s_add_i32 s23, s9, s8
	s_mul_i32 s22, s33, s6
	s_cmp_gt_i32 s57, s33
	s_mov_b64 s[8:9], -1
	s_waitcnt lgkmcnt(0)
	s_barrier
	s_cbranch_scc1 .LBB2_11
; %bb.5:
	v_cmp_gt_i32_e32 vcc, s33, v0
	s_and_saveexec_b64 s[24:25], vcc
	s_cbranch_execz .LBB2_10
; %bb.6:
	s_lshl_b64 s[8:9], s[22:23], 2
	v_lshlrev_b32_e32 v1, 2, v0
	v_mov_b32_e32 v2, s9
	v_add_co_u32_e32 v1, vcc, s8, v1
	v_addc_co_u32_e32 v5, vcc, 0, v2, vcc
	v_mov_b32_e32 v3, s19
	v_add_co_u32_e32 v2, vcc, s18, v1
	v_addc_co_u32_e32 v3, vcc, v3, v5, vcc
	;; [unrolled: 3-line block ×3, first 2 shown]
	s_mov_b64 s[26:27], 0
	v_mov_b32_e32 v1, v0
	s_branch .LBB2_8
.LBB2_7:                                ;   in Loop: Header=BB2_8 Depth=1
	s_or_b64 exec, exec, s[8:9]
	v_add_co_u32_e32 v2, vcc, 0x1000, v2
	v_add_u32_e32 v1, 0x400, v1
	v_addc_co_u32_e32 v3, vcc, 0, v3, vcc
	s_waitcnt vmcnt(0)
	global_store_dword v[4:5], v7, off
	v_add_co_u32_e32 v4, vcc, 0x1000, v4
	v_cmp_le_i32_e64 s[8:9], s33, v1
	s_or_b64 s[26:27], s[8:9], s[26:27]
	v_addc_co_u32_e32 v5, vcc, 0, v5, vcc
	s_andn2_b64 exec, exec, s[26:27]
	s_cbranch_execz .LBB2_10
.LBB2_8:                                ; =>This Inner Loop Header: Depth=1
	v_add_u32_e32 v6, s7, v1
	v_cmp_gt_i32_e32 vcc, s57, v1
	v_cndmask_b32_e32 v7, -1, v6, vcc
	global_store_dword v[2:3], v7, off
	v_mov_b32_e32 v7, 0
	s_and_saveexec_b64 s[8:9], vcc
	s_cbranch_execz .LBB2_7
; %bb.9:                                ;   in Loop: Header=BB2_8 Depth=1
	v_ashrrev_i32_e32 v7, 31, v6
	v_lshlrev_b64 v[6:7], 2, v[6:7]
	v_mov_b32_e32 v8, s15
	v_add_co_u32_e32 v6, vcc, s14, v6
	v_addc_co_u32_e32 v7, vcc, v8, v7, vcc
	global_load_dword v7, v[6:7], off
	s_branch .LBB2_7
.LBB2_10:
	s_or_b64 exec, exec, s[24:25]
	s_mov_b64 s[8:9], 0
.LBB2_11:
	s_andn2_b64 vcc, exec, s[8:9]
	s_cbranch_vccnz .LBB2_231
; %bb.12:
	s_lshl_b64 s[8:9], s[22:23], 2
	s_add_u32 s52, s16, s8
	s_addc_u32 s53, s17, s9
	s_add_u32 s54, s18, s8
	s_addc_u32 s55, s19, s9
	;; [unrolled: 2-line block ×3, first 2 shown]
	s_cmp_lg_u64 s[10:11], 0
	s_cselect_b32 s17, s8, 0
	s_load_dwordx2 s[8:9], s[4:5], 0x48
	s_load_dword s10, s[4:5], 0x64
	s_cselect_b32 s16, s7, 0
	s_lshr_b32 s7, s12, 5
	s_and_b32 s61, s7, 0x7ffffc0
	s_mul_hi_u32 s7, s6, s61
	s_mul_i32 s6, s6, s61
	s_lshl_b64 s[4:5], s[6:7], 4
	v_lshrrev_b32_e32 v1, 3, v0
	s_waitcnt lgkmcnt(0)
	s_add_u32 s22, s8, s4
	v_and_b32_e32 v1, 0x7c, v1
	v_lshlrev_b32_e32 v9, 2, v0
	s_movk_i32 s4, 0x4280
	v_add3_u32 v13, v9, v1, s4
	v_or_b32_e32 v1, 0x400, v0
	v_lshrrev_b32_e32 v1, 3, v1
	v_and_b32_e32 v1, 0xfc, v1
	v_add3_u32 v14, v1, v9, s4
	v_lshrrev_b32_e32 v1, 4, v0
	v_lshl_add_u32 v2, v0, 1, v1
	v_mov_b32_e32 v3, 0x4280
	s_addc_u32 s23, s9, s5
	s_and_b32 s56, s10, 0xffff
	v_lshl_add_u32 v15, v2, 2, v3
	v_mov_b32_e32 v2, 0x6380
	v_and_or_b32 v17, v1, 60, v2
	v_lshrrev_b32_e32 v1, 1, v0
	v_cvt_f32_u32_e32 v4, s56
	v_lshl_add_u32 v1, v0, 4, v1
	v_lshl_add_u32 v18, v1, 2, v3
	v_add_u32_e32 v1, -1, v0
	v_lshrrev_b32_e32 v2, 5, v1
	s_lshl_b32 s6, s61, 3
	v_add_u32_e32 v1, v2, v1
	v_rcp_iflag_f32_e32 v2, v4
	s_add_u32 s24, s22, s6
	s_addc_u32 s25, s23, 0
	s_lshl_b32 s6, s61, 2
	s_sub_u32 s26, s24, s6
	s_subb_u32 s27, s25, 0
	v_mul_f32_e32 v2, 0x4f7ffffe, v2
	s_add_u32 s28, s24, s6
	v_lshl_add_u32 v19, v1, 2, v3
	v_add_u32_e32 v1, s56, v0
	s_movk_i32 s6, 0x1000
	v_cvt_u32_f32_e32 v2, v2
	v_mov_b32_e32 v4, s56
	v_cmp_gt_u32_e32 vcc, s6, v1
	v_max_u32_e32 v3, 0x1000, v1
	v_addc_co_u32_e64 v1, s[6:7], v0, v4, vcc
	s_addc_u32 s29, s25, 0
	s_sub_i32 s6, 0, s56
	v_sub_u32_e32 v1, v3, v1
	v_mul_lo_u32 v3, s6, v2
	v_mul_hi_u32 v3, v2, v3
	v_add_u32_e32 v2, v2, v3
	v_mul_hi_u32 v2, v1, v2
	v_mul_lo_u32 v3, v2, s56
	v_sub_u32_e32 v1, v1, v3
	v_add_u32_e32 v3, 1, v2
	v_cmp_le_u32_e64 s[6:7], s56, v1
	v_cndmask_b32_e64 v2, v2, v3, s[6:7]
	v_subrev_u32_e32 v3, s56, v1
	v_cndmask_b32_e64 v1, v1, v3, s[6:7]
	v_add_u32_e32 v3, 1, v2
	v_cmp_le_u32_e64 s[6:7], s56, v1
	v_cndmask_b32_e64 v1, v2, v3, s[6:7]
	v_addc_co_u32_e64 v2, s[6:7], 1, v1, vcc
	v_cmp_lt_u32_e64 s[6:7], 1, v2
	v_cmp_eq_u16_e64 s[8:9], s10, 1
	v_and_b32_e32 v3, -2, v2
	s_and_b64 s[30:31], s[6:7], s[8:9]
	v_mad_u64_u32 v[6:7], s[6:7], v3, s56, v[0:1]
	v_addc_co_u32_e32 v1, vcc, -1, v1, vcc
	v_lshrrev_b32_e32 v4, 1, v1
	v_add_u32_e32 v4, 1, v4
	v_cmp_lt_u32_e64 s[6:7], 13, v1
	v_mbcnt_lo_u32_b32 v1, -1, 0
	v_and_b32_e32 v7, 7, v4
	v_mbcnt_hi_u32_b32 v26, -1, v1
	v_bfrev_b32_e32 v1, 0.5
	s_mov_b32 s21, 0
	v_cmp_gt_u32_e64 s[4:5], 64, v0
	v_mov_b32_e32 v16, 0
	v_and_b32_e32 v20, -8, v4
	v_cmp_ne_u32_e64 s[8:9], 0, v7
	v_cmp_ne_u32_e64 s[10:11], v2, v3
	v_add_u32_e32 v8, 0x280, v9
	s_lshl_b32 s62, s56, 6
	s_lshl_b32 s63, s56, 3
	s_lshl_b32 s64, s56, 2
	v_add_u32_e32 v21, 0x27c, v9
	v_lshlrev_b32_e32 v22, 2, v6
	s_movk_i32 s65, 0xfff
	v_bfrev_b32_e32 v23, -2
	v_mov_b32_e32 v24, 1
	s_movk_i32 s66, 0x7ff
	v_lshlrev_b32_e32 v25, 2, v0
	s_movk_i32 s67, 0x800
	s_mov_b64 s[34:35], src_shared_base
	v_lshl_or_b32 v27, v26, 2, v1
	v_mov_b32_e32 v28, 0x7ffff800
	s_mov_b32 s68, 0
	s_branch .LBB2_14
.LBB2_13:                               ;   in Loop: Header=BB2_14 Depth=1
	s_andn2_b64 vcc, exec, s[36:37]
	s_cbranch_vccz .LBB2_151
.LBB2_14:                               ; =>This Loop Header: Depth=1
                                        ;     Child Loop BB2_22 Depth 2
                                        ;     Child Loop BB2_26 Depth 2
                                        ;     Child Loop BB2_32 Depth 2
                                        ;     Child Loop BB2_42 Depth 2
                                        ;     Child Loop BB2_59 Depth 2
                                        ;     Child Loop BB2_73 Depth 2
                                        ;     Child Loop BB2_80 Depth 2
                                        ;     Child Loop BB2_143 Depth 2
	s_mov_b64 s[38:39], 0
	s_cmp_lt_i32 s68, 1
	s_mov_b64 s[36:37], s[14:15]
	s_mov_b64 s[12:13], 0
	;; [unrolled: 1-line block ×3, first 2 shown]
	s_cbranch_scc1 .LBB2_19
; %bb.15:                               ;   in Loop: Header=BB2_14 Depth=1
	s_cmp_lg_u32 s68, 1
	s_mov_b64 s[36:37], -1
                                        ; implicit-def: $sgpr18_sgpr19
                                        ; implicit-def: $sgpr12_sgpr13
                                        ; implicit-def: $sgpr38_sgpr39
	s_cbranch_scc0 .LBB2_17
; %bb.16:                               ;   in Loop: Header=BB2_14 Depth=1
	s_mov_b64 s[36:37], 0
	s_mov_b64 s[18:19], s[28:29]
	;; [unrolled: 1-line block ×4, first 2 shown]
.LBB2_17:                               ;   in Loop: Header=BB2_14 Depth=1
	s_andn2_b64 vcc, exec, s[36:37]
	s_mov_b64 s[36:37], s[22:23]
	s_cbranch_vccnz .LBB2_19
; %bb.18:                               ;   in Loop: Header=BB2_14 Depth=1
	s_mov_b64 s[18:19], s[24:25]
	s_mov_b64 s[12:13], s[22:23]
	;; [unrolled: 1-line block ×4, first 2 shown]
.LBB2_19:                               ;   in Loop: Header=BB2_14 Depth=1
	ds_read_b96 v[2:4], v16
	s_mov_b64 s[42:43], -1
	v_mov_b32_e32 v1, v0
	s_waitcnt lgkmcnt(0)
	v_readfirstlane_b32 s69, v2
	v_readfirstlane_b32 s58, v3
	;; [unrolled: 1-line block ×3, first 2 shown]
	v_mov_b32_e32 v2, v9
	s_and_saveexec_b64 s[40:41], s[30:31]
	s_cbranch_execz .LBB2_30
; %bb.20:                               ;   in Loop: Header=BB2_14 Depth=1
	v_mov_b32_e32 v3, 0
	s_and_saveexec_b64 s[42:43], s[6:7]
	s_cbranch_execz .LBB2_24
; %bb.21:                               ;   in Loop: Header=BB2_14 Depth=1
	s_mov_b32 s34, 0
	s_mov_b64 s[44:45], 0
	v_mov_b32_e32 v1, v20
	v_mov_b32_e32 v2, v8
.LBB2_22:                               ;   Parent Loop BB2_14 Depth=1
                                        ; =>  This Inner Loop Header: Depth=2
	v_add_u32_e32 v3, s63, v2
	v_add_u32_e32 v4, s63, v3
	ds_write2_b32 v2, v16, v16 offset1:1
	ds_write2_b32 v3, v16, v16 offset1:1
	;; [unrolled: 1-line block ×3, first 2 shown]
	v_add_u32_e32 v4, s63, v4
	ds_write2_b32 v4, v16, v16 offset1:1
	v_add_u32_e32 v4, s63, v4
	v_add_u32_e32 v1, -8, v1
	ds_write2_b32 v4, v16, v16 offset1:1
	v_add_u32_e32 v4, s63, v4
	s_add_i32 s34, s34, 16
	v_cmp_eq_u32_e32 vcc, 0, v1
	ds_write2_b32 v4, v16, v16 offset1:1
	v_add_u32_e32 v4, s63, v4
	v_add_u32_e32 v2, s62, v2
	v_mov_b32_e32 v3, s34
	s_or_b64 s[44:45], vcc, s[44:45]
	ds_write2_b32 v4, v16, v16 offset1:1
	v_add_u32_e32 v4, s63, v4
	ds_write2_b32 v4, v16, v16 offset1:1
	s_andn2_b64 exec, exec, s[44:45]
	s_cbranch_execnz .LBB2_22
; %bb.23:                               ;   in Loop: Header=BB2_14 Depth=1
	s_or_b64 exec, exec, s[44:45]
.LBB2_24:                               ;   in Loop: Header=BB2_14 Depth=1
	s_or_b64 exec, exec, s[42:43]
	s_and_saveexec_b64 s[42:43], s[8:9]
	s_cbranch_execz .LBB2_27
; %bb.25:                               ;   in Loop: Header=BB2_14 Depth=1
	v_mad_u64_u32 v[2:3], s[44:45], s64, v3, v[8:9]
	s_mov_b64 s[44:45], 0
	v_mov_b32_e32 v1, v7
.LBB2_26:                               ;   Parent Loop BB2_14 Depth=1
                                        ; =>  This Inner Loop Header: Depth=2
	v_add_u32_e32 v1, -1, v1
	v_cmp_eq_u32_e32 vcc, 0, v1
	ds_write2_b32 v2, v16, v16 offset1:1
	s_or_b64 s[44:45], vcc, s[44:45]
	v_add_u32_e32 v2, s63, v2
	s_andn2_b64 exec, exec, s[44:45]
	s_cbranch_execnz .LBB2_26
.LBB2_27:                               ;   in Loop: Header=BB2_14 Depth=1
	s_or_b64 exec, exec, s[42:43]
	s_mov_b64 s[42:43], 0
	s_and_saveexec_b64 s[44:45], s[10:11]
	s_xor_b64 s[44:45], exec, s[44:45]
; %bb.28:                               ;   in Loop: Header=BB2_14 Depth=1
	s_mov_b64 s[42:43], exec
; %bb.29:                               ;   in Loop: Header=BB2_14 Depth=1
	s_or_b64 exec, exec, s[44:45]
	s_orn2_b64 s[42:43], s[42:43], exec
	v_mov_b32_e32 v1, v6
	v_mov_b32_e32 v2, v22
.LBB2_30:                               ;   in Loop: Header=BB2_14 Depth=1
	s_or_b64 exec, exec, s[40:41]
	s_and_saveexec_b64 s[40:41], s[42:43]
	s_cbranch_execz .LBB2_33
; %bb.31:                               ;   in Loop: Header=BB2_14 Depth=1
	v_add_u32_e32 v2, 0x280, v2
	s_mov_b64 s[42:43], 0
.LBB2_32:                               ;   Parent Loop BB2_14 Depth=1
                                        ; =>  This Inner Loop Header: Depth=2
	v_add_u32_e32 v1, s56, v1
	v_cmp_lt_u32_e32 vcc, s65, v1
	ds_write_b32 v2, v16
	s_or_b64 s[42:43], vcc, s[42:43]
	v_add_u32_e32 v2, s64, v2
	s_andn2_b64 exec, exec, s[42:43]
	s_cbranch_execnz .LBB2_32
.LBB2_33:                               ;   in Loop: Header=BB2_14 Depth=1
	s_or_b64 exec, exec, s[40:41]
	s_and_saveexec_b64 s[40:41], s[2:3]
	s_cbranch_execz .LBB2_35
; %bb.34:                               ;   in Loop: Header=BB2_14 Depth=1
	ds_write_b32 v16, v16 offset:128
.LBB2_35:                               ;   in Loop: Header=BB2_14 Depth=1
	s_or_b64 exec, exec, s[40:41]
	s_cmp_gt_i32 s20, s61
	s_cselect_b64 s[40:41], -1, 0
	s_and_b64 s[42:43], s[40:41], exec
	s_cselect_b32 s36, s14, s36
	s_cselect_b32 s37, s15, s37
	;; [unrolled: 1-line block ×3, first 2 shown]
	s_cmp_gt_i32 s58, s61
	s_mul_i32 s20, s68, -11
	s_cselect_b32 s60, 0, s19
	s_cselect_b32 s59, 0, s18
	;; [unrolled: 1-line block ×4, first 2 shown]
	s_max_i32 s34, s20, 0xffffffeb
	s_add_i32 s34, s34, 21
	s_add_i32 s20, s20, 32
	s_sub_i32 s12, s20, s34
	s_lshl_b32 s12, -1, s12
	s_not_b32 s70, s12
	s_cmp_lg_u32 s68, 0
	s_waitcnt lgkmcnt(0)
	s_barrier
	s_cbranch_scc0 .LBB2_51
; %bb.36:                               ;   in Loop: Header=BB2_14 Depth=1
	ds_read_b32 v1, v16 offset:12
	s_cmp_lg_u64 s[18:19], 0
	v_cmp_gt_i32_e64 s[12:13], s71, v0
	s_cbranch_scc0 .LBB2_53
; %bb.37:                               ;   in Loop: Header=BB2_14 Depth=1
	s_and_b64 s[40:41], s[40:41], exec
	s_cselect_b32 s39, s17, s39
	s_cselect_b32 s38, s16, s38
	s_cmp_eq_u64 s[38:39], 0
	s_cbranch_scc1 .LBB2_54
; %bb.38:                               ;   in Loop: Header=BB2_14 Depth=1
	s_and_saveexec_b64 s[40:41], s[12:13]
	s_cbranch_execz .LBB2_52
; %bb.39:                               ;   in Loop: Header=BB2_14 Depth=1
	s_lshl_b32 s72, -1, s20
	s_mov_b64 s[42:43], 0
	v_mov_b32_e32 v10, s37
	v_mov_b32_e32 v2, v0
	s_branch .LBB2_42
.LBB2_40:                               ;   in Loop: Header=BB2_42 Depth=2
	s_or_b64 exec, exec, s[46:47]
	v_mov_b32_e32 v30, s39
	v_add_co_u32_e32 v4, vcc, s38, v4
	v_addc_co_u32_e32 v5, vcc, v30, v5, vcc
	flat_load_dword v32, v[4:5]
	s_waitcnt lgkmcnt(0)
	v_readfirstlane_b32 s46, v29
	v_lshrrev_b32_e32 v5, s34, v11
	v_add_u32_e32 v4, s46, v12
	v_and_b32_e32 v11, s70, v5
	v_ashrrev_i32_e32 v5, 31, v4
	v_lshlrev_b64 v[4:5], 2, v[4:5]
	v_mov_b32_e32 v29, s19
	v_add_co_u32_e32 v30, vcc, s18, v4
	v_addc_co_u32_e32 v31, vcc, v29, v5, vcc
	v_mov_b32_e32 v33, s60
	v_add_co_u32_e32 v4, vcc, s59, v4
	v_addc_co_u32_e32 v5, vcc, v33, v5, vcc
	flat_store_dword v[30:31], v3
	s_waitcnt vmcnt(0)
	flat_store_dword v[4:5], v32
	v_lshlrev_b32_e32 v3, 2, v11
	ds_add_u32 v3, v24 offset:640
.LBB2_41:                               ;   in Loop: Header=BB2_42 Depth=2
	s_or_b64 exec, exec, s[44:45]
	v_add_u32_e32 v2, s56, v2
	v_cmp_le_i32_e32 vcc, s71, v2
	s_or_b64 s[42:43], vcc, s[42:43]
	s_andn2_b64 exec, exec, s[42:43]
	s_cbranch_execz .LBB2_52
.LBB2_42:                               ;   Parent Loop BB2_14 Depth=1
                                        ; =>  This Inner Loop Header: Depth=2
	v_ashrrev_i32_e32 v3, 31, v2
	v_lshlrev_b64 v[4:5], 2, v[2:3]
	v_add_co_u32_e32 v30, vcc, s36, v4
	v_addc_co_u32_e32 v31, vcc, v10, v5, vcc
	global_load_dword v3, v[30:31], off
	s_waitcnt vmcnt(0)
	v_cmp_gt_f32_e32 vcc, 0, v3
	v_cndmask_b32_e64 v11, v23, 0, vcc
	v_xor_b32_e32 v11, v11, v3
	v_and_b32_e32 v12, s72, v11
	s_waitcnt lgkmcnt(0)
	v_cmp_ne_u32_e32 vcc, v12, v1
	s_and_saveexec_b64 s[44:45], vcc
	s_xor_b64 s[44:45], exec, s[44:45]
	s_cbranch_execz .LBB2_48
; %bb.43:                               ;   in Loop: Header=BB2_42 Depth=2
	v_cmp_lt_u32_e32 vcc, v12, v1
	s_and_saveexec_b64 s[46:47], vcc
	s_cbranch_execz .LBB2_47
; %bb.44:                               ;   in Loop: Header=BB2_42 Depth=2
	s_mov_b64 s[50:51], exec
	v_mbcnt_lo_u32_b32 v11, s50, 0
	v_mbcnt_hi_u32_b32 v11, s51, v11
	v_cmp_eq_u32_e32 vcc, 0, v11
                                        ; implicit-def: $vgpr12
	s_and_saveexec_b64 s[48:49], vcc
	s_cbranch_execz .LBB2_46
; %bb.45:                               ;   in Loop: Header=BB2_42 Depth=2
	s_bcnt1_i32_b64 s50, s[50:51]
	v_mov_b32_e32 v12, s50
	ds_add_rtn_u32 v12, v16, v12 offset:384
.LBB2_46:                               ;   in Loop: Header=BB2_42 Depth=2
	s_or_b64 exec, exec, s[48:49]
	v_mov_b32_e32 v29, s39
	v_add_co_u32_e32 v4, vcc, s38, v4
	v_addc_co_u32_e32 v5, vcc, v29, v5, vcc
	flat_load_dword v29, v[4:5]
	s_waitcnt lgkmcnt(0)
	v_readfirstlane_b32 s48, v12
	v_add_u32_e32 v4, s48, v11
	v_ashrrev_i32_e32 v5, 31, v4
	v_lshlrev_b64 v[4:5], 2, v[4:5]
	v_mov_b32_e32 v11, s53
	v_add_co_u32_e32 v30, vcc, s52, v4
	v_addc_co_u32_e32 v31, vcc, v11, v5, vcc
	global_store_dword v[30:31], v3, off
	v_mov_b32_e32 v3, s55
	v_add_co_u32_e32 v4, vcc, s54, v4
	v_addc_co_u32_e32 v5, vcc, v3, v5, vcc
	s_waitcnt vmcnt(0)
	global_store_dword v[4:5], v29, off
.LBB2_47:                               ;   in Loop: Header=BB2_42 Depth=2
	s_or_b64 exec, exec, s[46:47]
                                        ; implicit-def: $vgpr3
                                        ; implicit-def: $vgpr4_vgpr5
                                        ; implicit-def: $vgpr11
.LBB2_48:                               ;   in Loop: Header=BB2_42 Depth=2
	s_andn2_saveexec_b64 s[44:45], s[44:45]
	s_cbranch_execz .LBB2_41
; %bb.49:                               ;   in Loop: Header=BB2_42 Depth=2
	s_mov_b64 s[48:49], exec
	v_mbcnt_lo_u32_b32 v12, s48, 0
	v_mbcnt_hi_u32_b32 v12, s49, v12
	v_cmp_eq_u32_e32 vcc, 0, v12
                                        ; implicit-def: $vgpr29
	s_and_saveexec_b64 s[46:47], vcc
	s_cbranch_execz .LBB2_40
; %bb.50:                               ;   in Loop: Header=BB2_42 Depth=2
	s_bcnt1_i32_b64 s48, s[48:49]
	v_mov_b32_e32 v29, s48
	ds_add_rtn_u32 v29, v16, v29 offset:128
	s_branch .LBB2_40
.LBB2_51:                               ;   in Loop: Header=BB2_14 Depth=1
                                        ; implicit-def: $sgpr38_sgpr39
	s_branch .LBB2_77
.LBB2_52:                               ;   in Loop: Header=BB2_14 Depth=1
	s_or_b64 exec, exec, s[40:41]
	s_mov_b64 s[38:39], 0
	s_cbranch_execz .LBB2_55
	s_branch .LBB2_69
.LBB2_53:                               ;   in Loop: Header=BB2_14 Depth=1
                                        ; implicit-def: $sgpr38_sgpr39
	s_branch .LBB2_70
.LBB2_54:                               ;   in Loop: Header=BB2_14 Depth=1
	s_mov_b64 s[38:39], -1
.LBB2_55:                               ;   in Loop: Header=BB2_14 Depth=1
	s_and_saveexec_b64 s[38:39], s[12:13]
	s_cbranch_execz .LBB2_68
; %bb.56:                               ;   in Loop: Header=BB2_14 Depth=1
	s_lshl_b32 s48, -1, s20
	s_mov_b64 s[12:13], 0
	v_mov_b32_e32 v2, v0
	s_branch .LBB2_59
.LBB2_57:                               ;   in Loop: Header=BB2_59 Depth=2
	s_or_b64 exec, exec, s[42:43]
	s_waitcnt lgkmcnt(0)
	v_readfirstlane_b32 s42, v10
	v_add_u32_e32 v10, s42, v5
	v_ashrrev_i32_e32 v11, 31, v10
	v_lshlrev_b64 v[10:11], 2, v[10:11]
	v_mov_b32_e32 v5, s19
	v_add_co_u32_e32 v30, vcc, s18, v10
	v_addc_co_u32_e32 v31, vcc, v5, v11, vcc
	flat_store_dword v[30:31], v3
	v_mov_b32_e32 v3, s60
	v_add_co_u32_e32 v10, vcc, s59, v10
	v_addc_co_u32_e32 v11, vcc, v3, v11, vcc
	v_lshrrev_b32_e32 v3, s34, v4
	v_and_b32_e32 v3, s70, v3
	flat_store_dword v[10:11], v2
	v_lshlrev_b32_e32 v3, 2, v3
	ds_add_u32 v3, v24 offset:640
.LBB2_58:                               ;   in Loop: Header=BB2_59 Depth=2
	s_or_b64 exec, exec, s[40:41]
	v_add_u32_e32 v2, s56, v2
	v_cmp_le_i32_e32 vcc, s71, v2
	s_or_b64 s[12:13], vcc, s[12:13]
	s_andn2_b64 exec, exec, s[12:13]
	s_cbranch_execz .LBB2_68
.LBB2_59:                               ;   Parent Loop BB2_14 Depth=1
                                        ; =>  This Inner Loop Header: Depth=2
	v_ashrrev_i32_e32 v3, 31, v2
	v_lshlrev_b64 v[4:5], 2, v[2:3]
	v_mov_b32_e32 v3, s37
	v_add_co_u32_e32 v4, vcc, s36, v4
	v_addc_co_u32_e32 v5, vcc, v3, v5, vcc
	global_load_dword v3, v[4:5], off
	s_waitcnt vmcnt(0)
	v_cmp_gt_f32_e32 vcc, 0, v3
	v_cndmask_b32_e64 v4, v23, 0, vcc
	v_xor_b32_e32 v4, v4, v3
	v_and_b32_e32 v5, s48, v4
	s_waitcnt lgkmcnt(0)
	v_cmp_ne_u32_e32 vcc, v5, v1
	s_and_saveexec_b64 s[40:41], vcc
	s_xor_b64 s[40:41], exec, s[40:41]
	s_cbranch_execz .LBB2_65
; %bb.60:                               ;   in Loop: Header=BB2_59 Depth=2
	v_cmp_lt_u32_e32 vcc, v5, v1
	s_and_saveexec_b64 s[42:43], vcc
	s_cbranch_execz .LBB2_64
; %bb.61:                               ;   in Loop: Header=BB2_59 Depth=2
	s_mov_b64 s[46:47], exec
	v_mbcnt_lo_u32_b32 v4, s46, 0
	v_mbcnt_hi_u32_b32 v4, s47, v4
	v_cmp_eq_u32_e32 vcc, 0, v4
                                        ; implicit-def: $vgpr5
	s_and_saveexec_b64 s[44:45], vcc
	s_cbranch_execz .LBB2_63
; %bb.62:                               ;   in Loop: Header=BB2_59 Depth=2
	s_bcnt1_i32_b64 s46, s[46:47]
	v_mov_b32_e32 v5, s46
	ds_add_rtn_u32 v5, v16, v5 offset:384
.LBB2_63:                               ;   in Loop: Header=BB2_59 Depth=2
	s_or_b64 exec, exec, s[44:45]
	s_waitcnt lgkmcnt(0)
	v_readfirstlane_b32 s44, v5
	v_add_u32_e32 v4, s44, v4
	v_ashrrev_i32_e32 v5, 31, v4
	v_lshlrev_b64 v[4:5], 2, v[4:5]
	v_mov_b32_e32 v11, s53
	v_add_co_u32_e32 v10, vcc, s52, v4
	v_addc_co_u32_e32 v11, vcc, v11, v5, vcc
	global_store_dword v[10:11], v3, off
	v_mov_b32_e32 v3, s55
	v_add_co_u32_e32 v4, vcc, s54, v4
	v_addc_co_u32_e32 v5, vcc, v3, v5, vcc
	global_store_dword v[4:5], v2, off
.LBB2_64:                               ;   in Loop: Header=BB2_59 Depth=2
	s_or_b64 exec, exec, s[42:43]
                                        ; implicit-def: $vgpr3
                                        ; implicit-def: $vgpr4
.LBB2_65:                               ;   in Loop: Header=BB2_59 Depth=2
	s_andn2_saveexec_b64 s[40:41], s[40:41]
	s_cbranch_execz .LBB2_58
; %bb.66:                               ;   in Loop: Header=BB2_59 Depth=2
	s_mov_b64 s[44:45], exec
	v_mbcnt_lo_u32_b32 v5, s44, 0
	v_mbcnt_hi_u32_b32 v5, s45, v5
	v_cmp_eq_u32_e32 vcc, 0, v5
                                        ; implicit-def: $vgpr10
	s_and_saveexec_b64 s[42:43], vcc
	s_cbranch_execz .LBB2_57
; %bb.67:                               ;   in Loop: Header=BB2_59 Depth=2
	s_bcnt1_i32_b64 s44, s[44:45]
	v_mov_b32_e32 v10, s44
	ds_add_rtn_u32 v10, v16, v10 offset:128
	s_branch .LBB2_57
.LBB2_68:                               ;   in Loop: Header=BB2_14 Depth=1
	s_or_b64 exec, exec, s[38:39]
	s_mov_b64 s[38:39], 0
.LBB2_69:                               ;   in Loop: Header=BB2_14 Depth=1
	s_cbranch_execnz .LBB2_76
.LBB2_70:                               ;   in Loop: Header=BB2_14 Depth=1
	v_cmp_gt_i32_e32 vcc, s71, v0
	s_and_saveexec_b64 s[12:13], vcc
	s_cbranch_execz .LBB2_75
; %bb.71:                               ;   in Loop: Header=BB2_14 Depth=1
	s_lshl_b32 s20, -1, s20
	s_mov_b64 s[38:39], 0
	v_mov_b32_e32 v2, v0
	s_branch .LBB2_73
.LBB2_72:                               ;   in Loop: Header=BB2_73 Depth=2
	s_or_b64 exec, exec, s[40:41]
	v_add_u32_e32 v2, s56, v2
	v_cmp_le_i32_e32 vcc, s71, v2
	s_or_b64 s[38:39], vcc, s[38:39]
	s_andn2_b64 exec, exec, s[38:39]
	s_cbranch_execz .LBB2_75
.LBB2_73:                               ;   Parent Loop BB2_14 Depth=1
                                        ; =>  This Inner Loop Header: Depth=2
	v_ashrrev_i32_e32 v3, 31, v2
	v_lshlrev_b64 v[4:5], 2, v[2:3]
	v_mov_b32_e32 v3, s37
	v_add_co_u32_e32 v4, vcc, s36, v4
	v_addc_co_u32_e32 v5, vcc, v3, v5, vcc
	global_load_dword v3, v[4:5], off
	s_waitcnt vmcnt(0)
	v_cmp_gt_f32_e32 vcc, 0, v3
	v_cndmask_b32_e64 v4, v23, 0, vcc
	v_xor_b32_e32 v3, v4, v3
	v_and_b32_e32 v4, s20, v3
	s_waitcnt lgkmcnt(0)
	v_cmp_eq_u32_e32 vcc, v4, v1
	s_and_saveexec_b64 s[40:41], vcc
	s_cbranch_execz .LBB2_72
; %bb.74:                               ;   in Loop: Header=BB2_73 Depth=2
	v_lshrrev_b32_e32 v3, s34, v3
	v_and_b32_e32 v3, s70, v3
	v_lshlrev_b32_e32 v3, 2, v3
	ds_add_u32 v3, v24 offset:640
	s_branch .LBB2_72
.LBB2_75:                               ;   in Loop: Header=BB2_14 Depth=1
	s_or_b64 exec, exec, s[12:13]
	s_mov_b64 s[38:39], 0
.LBB2_76:                               ;   in Loop: Header=BB2_14 Depth=1
	s_cbranch_execnz .LBB2_135
.LBB2_77:                               ;   in Loop: Header=BB2_14 Depth=1
	s_and_b32 s20, s36, 15
	s_sub_i32 s12, 16, s20
	s_lshr_b32 s12, s12, 2
	s_cmp_lg_u64 s[20:21], 0
	s_cselect_b32 s12, s12, 0
	s_min_i32 s12, s12, s71
	s_sub_i32 s13, s71, s12
	s_ashr_i32 s20, s13, 31
	s_lshr_b32 s20, s20, 30
	s_add_i32 s13, s13, s20
	s_ashr_i32 s20, s13, 2
	v_cmp_gt_i32_e32 vcc, s20, v0
	v_mov_b32_e32 v29, -1
	v_mov_b32_e32 v30, 0
	v_mov_b32_e32 v12, 0x7f7fffff
	s_waitcnt lgkmcnt(0)
	v_mov_b32_e32 v1, 0xff7fffff
                                        ; implicit-def: $vgpr5
	s_and_saveexec_b64 s[38:39], vcc
	s_cbranch_execz .LBB2_105
; %bb.78:                               ;   in Loop: Header=BB2_14 Depth=1
	s_ashr_i32 s13, s12, 31
	s_lshl_b64 s[40:41], s[12:13], 2
	s_add_u32 s13, s36, s40
	s_addc_u32 s46, s37, s41
	s_mov_b64 s[40:41], 0
	v_mov_b32_e32 v1, 0xff7fffff
	v_mov_b32_e32 v12, 0x7f7fffff
	v_mov_b32_e32 v29, -1
	v_mov_b32_e32 v30, 0
	v_mov_b32_e32 v10, v0
	s_branch .LBB2_80
.LBB2_79:                               ;   in Loop: Header=BB2_80 Depth=2
	s_or_b64 exec, exec, s[42:43]
	v_min3_f32 v11, v12, v2, v3
	v_max3_f32 v1, v1, v2, v3
	v_and_b32_e32 v2, 0x7ff, v32
	v_lshlrev_b32_e32 v2, 2, v2
	ds_add_u32 v2, v24 offset:8832
	v_add_u32_e32 v10, s56, v10
	v_cmp_le_i32_e32 vcc, s20, v10
	v_min3_f32 v12, v11, v4, v5
	s_or_b64 s[40:41], vcc, s[40:41]
	v_max3_f32 v1, v1, v4, v5
	s_andn2_b64 exec, exec, s[40:41]
	s_cbranch_execz .LBB2_104
.LBB2_80:                               ;   Parent Loop BB2_14 Depth=1
                                        ; =>  This Inner Loop Header: Depth=2
	v_ashrrev_i32_e32 v11, 31, v10
	v_lshlrev_b64 v[2:3], 4, v[10:11]
	v_mov_b32_e32 v4, s46
	v_add_co_u32_e32 v2, vcc, s13, v2
	v_addc_co_u32_e32 v3, vcc, v4, v3, vcc
	global_load_dwordx4 v[2:5], v[2:3], off
                                        ; implicit-def: $sgpr44
	s_waitcnt vmcnt(0)
	v_cmp_gt_f32_e32 vcc, 0, v2
	v_cndmask_b32_e64 v11, v23, 0, vcc
	v_xor_b32_e32 v32, v11, v2
	v_lshrrev_b32_e32 v11, s34, v32
	v_and_b32_e32 v11, s70, v11
	v_cmp_ne_u32_e32 vcc, v11, v29
	s_and_saveexec_b64 s[42:43], vcc
	s_xor_b64 s[42:43], exec, s[42:43]
	s_cbranch_execz .LBB2_84
; %bb.81:                               ;   in Loop: Header=BB2_80 Depth=2
	v_cmp_lt_i32_e32 vcc, 0, v30
	s_and_saveexec_b64 s[44:45], vcc
	s_cbranch_execz .LBB2_83
; %bb.82:                               ;   in Loop: Header=BB2_80 Depth=2
	v_lshlrev_b32_e32 v29, 2, v29
	ds_add_u32 v29, v30 offset:640
.LBB2_83:                               ;   in Loop: Header=BB2_80 Depth=2
	s_or_b64 exec, exec, s[44:45]
	s_mov_b32 s44, 1
                                        ; implicit-def: $vgpr30
                                        ; implicit-def: $vgpr29
.LBB2_84:                               ;   in Loop: Header=BB2_80 Depth=2
	s_or_saveexec_b64 s[42:43], s[42:43]
	v_mov_b32_e32 v31, s44
	s_xor_b64 exec, exec, s[42:43]
; %bb.85:                               ;   in Loop: Header=BB2_80 Depth=2
	v_add_u32_e32 v31, 1, v30
	v_mov_b32_e32 v11, v29
; %bb.86:                               ;   in Loop: Header=BB2_80 Depth=2
	s_or_b64 exec, exec, s[42:43]
	v_and_b32_e32 v29, 0x7ff, v32
	v_lshlrev_b32_e32 v29, 2, v29
	v_cmp_gt_f32_e32 vcc, 0, v3
	ds_add_u32 v29, v24 offset:8832
	v_cndmask_b32_e64 v29, v23, 0, vcc
	v_xor_b32_e32 v32, v29, v3
	v_lshrrev_b32_e32 v29, s34, v32
	v_and_b32_e32 v29, s70, v29
	v_cmp_ne_u32_e32 vcc, v29, v11
                                        ; implicit-def: $sgpr44
	s_and_saveexec_b64 s[42:43], vcc
	s_xor_b64 s[42:43], exec, s[42:43]
	s_cbranch_execz .LBB2_90
; %bb.87:                               ;   in Loop: Header=BB2_80 Depth=2
	v_cmp_lt_i32_e32 vcc, 0, v31
	s_and_saveexec_b64 s[44:45], vcc
	s_cbranch_execz .LBB2_89
; %bb.88:                               ;   in Loop: Header=BB2_80 Depth=2
	v_lshlrev_b32_e32 v11, 2, v11
	ds_add_u32 v11, v31 offset:640
.LBB2_89:                               ;   in Loop: Header=BB2_80 Depth=2
	s_or_b64 exec, exec, s[44:45]
	s_mov_b32 s44, 1
                                        ; implicit-def: $vgpr31
                                        ; implicit-def: $vgpr11
.LBB2_90:                               ;   in Loop: Header=BB2_80 Depth=2
	s_or_saveexec_b64 s[42:43], s[42:43]
	v_mov_b32_e32 v30, s44
	s_xor_b64 exec, exec, s[42:43]
; %bb.91:                               ;   in Loop: Header=BB2_80 Depth=2
	v_add_u32_e32 v30, 1, v31
	v_mov_b32_e32 v29, v11
; %bb.92:                               ;   in Loop: Header=BB2_80 Depth=2
	s_or_b64 exec, exec, s[42:43]
	v_and_b32_e32 v11, 0x7ff, v32
	v_lshlrev_b32_e32 v11, 2, v11
	v_cmp_gt_f32_e32 vcc, 0, v4
	ds_add_u32 v11, v24 offset:8832
	v_cndmask_b32_e64 v11, v23, 0, vcc
	v_xor_b32_e32 v32, v11, v4
	v_lshrrev_b32_e32 v11, s34, v32
	v_and_b32_e32 v11, s70, v11
	v_cmp_ne_u32_e32 vcc, v11, v29
                                        ; implicit-def: $sgpr44
	s_and_saveexec_b64 s[42:43], vcc
	s_xor_b64 s[42:43], exec, s[42:43]
	s_cbranch_execz .LBB2_96
; %bb.93:                               ;   in Loop: Header=BB2_80 Depth=2
	v_cmp_lt_i32_e32 vcc, 0, v30
	s_and_saveexec_b64 s[44:45], vcc
	s_cbranch_execz .LBB2_95
; %bb.94:                               ;   in Loop: Header=BB2_80 Depth=2
	v_lshlrev_b32_e32 v29, 2, v29
	ds_add_u32 v29, v30 offset:640
.LBB2_95:                               ;   in Loop: Header=BB2_80 Depth=2
	s_or_b64 exec, exec, s[44:45]
	s_mov_b32 s44, 1
                                        ; implicit-def: $vgpr30
                                        ; implicit-def: $vgpr29
.LBB2_96:                               ;   in Loop: Header=BB2_80 Depth=2
	s_or_saveexec_b64 s[42:43], s[42:43]
	v_mov_b32_e32 v31, s44
	s_xor_b64 exec, exec, s[42:43]
; %bb.97:                               ;   in Loop: Header=BB2_80 Depth=2
	v_add_u32_e32 v31, 1, v30
	v_mov_b32_e32 v11, v29
; %bb.98:                               ;   in Loop: Header=BB2_80 Depth=2
	s_or_b64 exec, exec, s[42:43]
	v_and_b32_e32 v29, 0x7ff, v32
	v_lshlrev_b32_e32 v29, 2, v29
	v_cmp_gt_f32_e32 vcc, 0, v5
	ds_add_u32 v29, v24 offset:8832
	v_cndmask_b32_e64 v29, v23, 0, vcc
	v_xor_b32_e32 v32, v29, v5
	v_lshrrev_b32_e32 v29, s34, v32
	v_and_b32_e32 v29, s70, v29
	v_cmp_ne_u32_e32 vcc, v29, v11
                                        ; implicit-def: $sgpr44
	s_and_saveexec_b64 s[42:43], vcc
	s_xor_b64 s[42:43], exec, s[42:43]
	s_cbranch_execz .LBB2_102
; %bb.99:                               ;   in Loop: Header=BB2_80 Depth=2
	v_cmp_lt_i32_e32 vcc, 0, v31
	s_and_saveexec_b64 s[44:45], vcc
	s_cbranch_execz .LBB2_101
; %bb.100:                              ;   in Loop: Header=BB2_80 Depth=2
	v_lshlrev_b32_e32 v11, 2, v11
	ds_add_u32 v11, v31 offset:640
.LBB2_101:                              ;   in Loop: Header=BB2_80 Depth=2
	s_or_b64 exec, exec, s[44:45]
	s_mov_b32 s44, 1
                                        ; implicit-def: $vgpr31
                                        ; implicit-def: $vgpr11
.LBB2_102:                              ;   in Loop: Header=BB2_80 Depth=2
	s_or_saveexec_b64 s[42:43], s[42:43]
	v_mov_b32_e32 v30, s44
	s_xor_b64 exec, exec, s[42:43]
	s_cbranch_execz .LBB2_79
; %bb.103:                              ;   in Loop: Header=BB2_80 Depth=2
	v_add_u32_e32 v30, 1, v31
	v_mov_b32_e32 v29, v11
	s_branch .LBB2_79
.LBB2_104:                              ;   in Loop: Header=BB2_14 Depth=1
	s_or_b64 exec, exec, s[40:41]
.LBB2_105:                              ;   in Loop: Header=BB2_14 Depth=1
	s_or_b64 exec, exec, s[38:39]
	v_cmp_gt_u32_e32 vcc, s12, v0
	s_and_saveexec_b64 s[38:39], vcc
	s_cbranch_execz .LBB2_113
; %bb.106:                              ;   in Loop: Header=BB2_14 Depth=1
	global_load_dword v5, v25, s[36:37]
                                        ; implicit-def: $sgpr13
	s_waitcnt vmcnt(0)
	v_cmp_gt_f32_e32 vcc, 0, v5
	v_cndmask_b32_e64 v2, v23, 0, vcc
	v_xor_b32_e32 v3, v2, v5
	v_lshrrev_b32_e32 v2, s34, v3
	v_and_b32_e32 v2, s70, v2
	v_cmp_ne_u32_e32 vcc, v2, v29
	s_and_saveexec_b64 s[40:41], vcc
	s_xor_b64 s[40:41], exec, s[40:41]
	s_cbranch_execz .LBB2_110
; %bb.107:                              ;   in Loop: Header=BB2_14 Depth=1
	v_cmp_lt_i32_e32 vcc, 0, v30
	s_and_saveexec_b64 s[42:43], vcc
	s_cbranch_execz .LBB2_109
; %bb.108:                              ;   in Loop: Header=BB2_14 Depth=1
	v_lshlrev_b32_e32 v4, 2, v29
	ds_add_u32 v4, v30 offset:640
.LBB2_109:                              ;   in Loop: Header=BB2_14 Depth=1
	s_or_b64 exec, exec, s[42:43]
	s_mov_b32 s13, 1
                                        ; implicit-def: $vgpr30
                                        ; implicit-def: $vgpr29
.LBB2_110:                              ;   in Loop: Header=BB2_14 Depth=1
	s_or_saveexec_b64 s[40:41], s[40:41]
	v_mov_b32_e32 v4, s13
	s_xor_b64 exec, exec, s[40:41]
; %bb.111:                              ;   in Loop: Header=BB2_14 Depth=1
	v_add_u32_e32 v4, 1, v30
	v_mov_b32_e32 v2, v29
; %bb.112:                              ;   in Loop: Header=BB2_14 Depth=1
	s_or_b64 exec, exec, s[40:41]
	v_and_b32_e32 v3, 0x7ff, v3
	v_lshlrev_b32_e32 v3, 2, v3
	ds_add_u32 v3, v24 offset:8832
	v_max_f32_e32 v3, v12, v12
	v_max_f32_e32 v10, v5, v5
	;; [unrolled: 1-line block ×3, first 2 shown]
	v_min_f32_e32 v12, v3, v10
	v_max_f32_e32 v1, v1, v10
	v_mov_b32_e32 v29, v2
	v_mov_b32_e32 v30, v4
.LBB2_113:                              ;   in Loop: Header=BB2_14 Depth=1
	s_or_b64 exec, exec, s[38:39]
	s_lshl_b32 s13, s20, 2
	s_add_i32 s13, s13, s12
	v_add_u32_e32 v2, s13, v0
	v_cmp_gt_i32_e32 vcc, s71, v2
	s_and_saveexec_b64 s[12:13], vcc
	s_cbranch_execz .LBB2_121
; %bb.114:                              ;   in Loop: Header=BB2_14 Depth=1
	v_ashrrev_i32_e32 v3, 31, v2
	v_lshlrev_b64 v[2:3], 2, v[2:3]
	v_mov_b32_e32 v4, s37
	v_add_co_u32_e32 v2, vcc, s36, v2
	v_addc_co_u32_e32 v3, vcc, v4, v3, vcc
	global_load_dword v5, v[2:3], off
                                        ; implicit-def: $sgpr20
	s_waitcnt vmcnt(0)
	v_cmp_gt_f32_e32 vcc, 0, v5
	v_cndmask_b32_e64 v2, v23, 0, vcc
	v_xor_b32_e32 v3, v2, v5
	v_lshrrev_b32_e32 v2, s34, v3
	v_and_b32_e32 v2, s70, v2
	v_cmp_ne_u32_e32 vcc, v2, v29
	s_and_saveexec_b64 s[36:37], vcc
	s_xor_b64 s[36:37], exec, s[36:37]
	s_cbranch_execz .LBB2_118
; %bb.115:                              ;   in Loop: Header=BB2_14 Depth=1
	v_cmp_lt_i32_e32 vcc, 0, v30
	s_and_saveexec_b64 s[38:39], vcc
	s_cbranch_execz .LBB2_117
; %bb.116:                              ;   in Loop: Header=BB2_14 Depth=1
	v_lshlrev_b32_e32 v4, 2, v29
	ds_add_u32 v4, v30 offset:640
.LBB2_117:                              ;   in Loop: Header=BB2_14 Depth=1
	s_or_b64 exec, exec, s[38:39]
	s_mov_b32 s20, 1
                                        ; implicit-def: $vgpr30
                                        ; implicit-def: $vgpr29
.LBB2_118:                              ;   in Loop: Header=BB2_14 Depth=1
	s_or_saveexec_b64 s[36:37], s[36:37]
	v_mov_b32_e32 v4, s20
	s_xor_b64 exec, exec, s[36:37]
; %bb.119:                              ;   in Loop: Header=BB2_14 Depth=1
	v_add_u32_e32 v4, 1, v30
	v_mov_b32_e32 v2, v29
; %bb.120:                              ;   in Loop: Header=BB2_14 Depth=1
	s_or_b64 exec, exec, s[36:37]
	v_and_b32_e32 v3, 0x7ff, v3
	v_lshlrev_b32_e32 v3, 2, v3
	ds_add_u32 v3, v24 offset:8832
	v_max_f32_e32 v3, v12, v12
	v_max_f32_e32 v10, v5, v5
	;; [unrolled: 1-line block ×3, first 2 shown]
	v_min_f32_e32 v12, v3, v10
	v_max_f32_e32 v1, v1, v10
	v_mov_b32_e32 v29, v2
	v_mov_b32_e32 v30, v4
.LBB2_121:                              ;   in Loop: Header=BB2_14 Depth=1
	s_or_b64 exec, exec, s[12:13]
	v_cmp_lt_i32_e32 vcc, 0, v30
	s_and_saveexec_b64 s[12:13], vcc
	s_cbranch_execz .LBB2_124
; %bb.122:                              ;   in Loop: Header=BB2_14 Depth=1
	v_cmp_lt_f32_e32 vcc, 0, v5
	v_xor_b32_e32 v2, 0x80000000, v5
	v_cndmask_b32_e64 v3, v23, 0, vcc
	v_xor_b32_e32 v2, v3, v2
	v_lshrrev_b32_e32 v2, s34, v2
	v_and_b32_e32 v2, s70, v2
	v_cmp_ne_u32_e32 vcc, v2, v29
	s_and_b64 exec, exec, vcc
	s_cbranch_execz .LBB2_124
; %bb.123:                              ;   in Loop: Header=BB2_14 Depth=1
	v_lshlrev_b32_e32 v2, 2, v29
	ds_add_u32 v2, v30 offset:640
.LBB2_124:                              ;   in Loop: Header=BB2_14 Depth=1
	s_or_b64 exec, exec, s[12:13]
	v_mov_b32_dpp v2, v12 quad_perm:[1,0,3,2] row_mask:0xf bank_mask:0xf bound_ctrl:1
	v_cmp_lt_f32_e32 vcc, v12, v2
	v_cndmask_b32_e32 v2, v2, v12, vcc
	s_nop 1
	v_mov_b32_dpp v3, v2 quad_perm:[2,3,0,1] row_mask:0xf bank_mask:0xf bound_ctrl:1
	v_cmp_lt_f32_e32 vcc, v2, v3
	v_cndmask_b32_e32 v2, v3, v2, vcc
	s_nop 1
	v_mov_b32_dpp v3, v2 row_ror:4 row_mask:0xf bank_mask:0xf bound_ctrl:1
	v_cmp_lt_f32_e32 vcc, v2, v3
	v_cndmask_b32_e32 v2, v3, v2, vcc
	s_nop 1
	v_mov_b32_dpp v3, v2 row_ror:8 row_mask:0xf bank_mask:0xf bound_ctrl:1
	v_cmp_lt_f32_e32 vcc, v2, v3
	v_cndmask_b32_e32 v2, v3, v2, vcc
	s_nop 1
	v_mov_b32_dpp v3, v2 row_bcast:15 row_mask:0xf bank_mask:0xf bound_ctrl:1
	v_cmp_lt_f32_e32 vcc, v2, v3
	v_cndmask_b32_e32 v2, v3, v2, vcc
	s_nop 1
	v_mov_b32_dpp v3, v2 row_bcast:31 row_mask:0xf bank_mask:0xf bound_ctrl:1
	v_cmp_lt_f32_e32 vcc, v2, v3
	v_cndmask_b32_e32 v2, v3, v2, vcc
	ds_bpermute_b32 v2, v27, v2
	v_cmp_eq_u32_e32 vcc, 0, v26
	s_and_saveexec_b64 s[12:13], vcc
	s_cbranch_execz .LBB2_126
; %bb.125:                              ;   in Loop: Header=BB2_14 Depth=1
	s_waitcnt lgkmcnt(0)
	ds_write_b32 v17, v2
.LBB2_126:                              ;   in Loop: Header=BB2_14 Depth=1
	s_or_b64 exec, exec, s[12:13]
	v_and_b32_e32 v3, 15, v26
	v_lshlrev_b32_e32 v4, 2, v3
	s_waitcnt lgkmcnt(0)
	s_barrier
	s_and_saveexec_b64 s[36:37], s[4:5]
	s_cbranch_execz .LBB2_128
; %bb.127:                              ;   in Loop: Header=BB2_14 Depth=1
	ds_read_b32 v2, v4 offset:25472
	v_cmp_ne_u32_e64 s[12:13], 15, v3
	v_addc_co_u32_e64 v5, s[12:13], 0, v26, s[12:13]
	v_lshlrev_b32_e32 v5, 2, v5
	s_waitcnt lgkmcnt(0)
	ds_bpermute_b32 v5, v5, v2
	v_cmp_gt_u32_e64 s[12:13], 14, v3
	v_cndmask_b32_e64 v10, 0, 1, s[12:13]
	v_lshlrev_b32_e32 v10, 1, v10
	s_waitcnt lgkmcnt(0)
	v_cmp_gt_f32_e64 s[12:13], v2, v5
	v_cndmask_b32_e64 v2, v2, v5, s[12:13]
	v_add_lshl_u32 v5, v10, v26, 2
	ds_bpermute_b32 v5, v5, v2
	v_cmp_gt_u32_e64 s[12:13], 12, v3
	v_cndmask_b32_e64 v10, 0, 1, s[12:13]
	s_waitcnt lgkmcnt(0)
	v_cmp_gt_f32_e64 s[12:13], v2, v5
	v_cndmask_b32_e64 v2, v2, v5, s[12:13]
	v_lshlrev_b32_e32 v5, 2, v10
	v_add_lshl_u32 v5, v5, v26, 2
	ds_bpermute_b32 v5, v5, v2
	s_waitcnt lgkmcnt(0)
	v_cmp_gt_f32_e64 s[12:13], v2, v5
	v_cndmask_b32_e64 v2, v2, v5, s[12:13]
	v_cmp_gt_u32_e64 s[12:13], 8, v3
	v_cndmask_b32_e64 v5, 0, 1, s[12:13]
	v_lshlrev_b32_e32 v5, 3, v5
	v_add_lshl_u32 v5, v5, v26, 2
	ds_bpermute_b32 v5, v5, v2
	s_waitcnt lgkmcnt(0)
	v_cmp_gt_f32_e64 s[12:13], v2, v5
	v_cndmask_b32_e64 v2, v2, v5, s[12:13]
.LBB2_128:                              ;   in Loop: Header=BB2_14 Depth=1
	s_or_b64 exec, exec, s[36:37]
	v_mov_b32_dpp v5, v1 quad_perm:[1,0,3,2] row_mask:0xf bank_mask:0xf bound_ctrl:1
	v_cmp_gt_f32_e64 s[12:13], v1, v5
	v_cndmask_b32_e64 v1, v5, v1, s[12:13]
	s_nop 1
	v_mov_b32_dpp v5, v1 quad_perm:[2,3,0,1] row_mask:0xf bank_mask:0xf bound_ctrl:1
	v_cmp_gt_f32_e64 s[12:13], v1, v5
	v_cndmask_b32_e64 v1, v5, v1, s[12:13]
	s_nop 1
	v_mov_b32_dpp v5, v1 row_ror:4 row_mask:0xf bank_mask:0xf bound_ctrl:1
	v_cmp_gt_f32_e64 s[12:13], v1, v5
	v_cndmask_b32_e64 v1, v5, v1, s[12:13]
	s_nop 1
	v_mov_b32_dpp v5, v1 row_ror:8 row_mask:0xf bank_mask:0xf bound_ctrl:1
	v_cmp_gt_f32_e64 s[12:13], v1, v5
	v_cndmask_b32_e64 v1, v5, v1, s[12:13]
	s_nop 1
	v_mov_b32_dpp v5, v1 row_bcast:15 row_mask:0xf bank_mask:0xf bound_ctrl:1
	v_cmp_gt_f32_e64 s[12:13], v1, v5
	v_cndmask_b32_e64 v1, v5, v1, s[12:13]
	s_nop 1
	v_mov_b32_dpp v5, v1 row_bcast:31 row_mask:0xf bank_mask:0xf bound_ctrl:1
	v_cmp_gt_f32_e64 s[12:13], v1, v5
	v_cndmask_b32_e64 v1, v5, v1, s[12:13]
	ds_bpermute_b32 v1, v27, v1
	s_and_saveexec_b64 s[12:13], vcc
	s_cbranch_execz .LBB2_130
; %bb.129:                              ;   in Loop: Header=BB2_14 Depth=1
	s_waitcnt lgkmcnt(0)
	ds_write_b32 v17, v1
.LBB2_130:                              ;   in Loop: Header=BB2_14 Depth=1
	s_or_b64 exec, exec, s[12:13]
	s_waitcnt lgkmcnt(0)
	s_barrier
	s_and_saveexec_b64 s[12:13], s[4:5]
	s_cbranch_execz .LBB2_132
; %bb.131:                              ;   in Loop: Header=BB2_14 Depth=1
	ds_read_b32 v1, v4 offset:25472
	v_cmp_ne_u32_e32 vcc, 15, v3
	v_addc_co_u32_e32 v4, vcc, 0, v26, vcc
	v_lshlrev_b32_e32 v4, 2, v4
	s_waitcnt lgkmcnt(0)
	ds_bpermute_b32 v4, v4, v1
	v_cmp_gt_u32_e32 vcc, 14, v3
	v_cndmask_b32_e64 v5, 0, 1, vcc
	v_lshlrev_b32_e32 v5, 1, v5
	s_waitcnt lgkmcnt(0)
	v_cmp_lt_f32_e32 vcc, v1, v4
	v_cndmask_b32_e32 v1, v1, v4, vcc
	v_add_lshl_u32 v4, v5, v26, 2
	ds_bpermute_b32 v4, v4, v1
	v_cmp_gt_u32_e32 vcc, 12, v3
	v_cndmask_b32_e64 v5, 0, 1, vcc
	s_waitcnt lgkmcnt(0)
	v_cmp_lt_f32_e32 vcc, v1, v4
	v_cndmask_b32_e32 v1, v1, v4, vcc
	v_lshlrev_b32_e32 v4, 2, v5
	v_add_lshl_u32 v4, v4, v26, 2
	ds_bpermute_b32 v4, v4, v1
	s_waitcnt lgkmcnt(0)
	v_cmp_lt_f32_e32 vcc, v1, v4
	v_cndmask_b32_e32 v1, v1, v4, vcc
	v_cmp_gt_u32_e32 vcc, 8, v3
	v_cndmask_b32_e64 v3, 0, 1, vcc
	v_lshlrev_b32_e32 v3, 3, v3
	v_add_lshl_u32 v3, v3, v26, 2
	ds_bpermute_b32 v3, v3, v1
	s_waitcnt lgkmcnt(0)
	v_cmp_lt_f32_e32 vcc, v1, v3
	v_cndmask_b32_e32 v1, v1, v3, vcc
.LBB2_132:                              ;   in Loop: Header=BB2_14 Depth=1
	s_or_b64 exec, exec, s[12:13]
	s_and_saveexec_b64 s[12:13], s[2:3]
	s_cbranch_execz .LBB2_134
; %bb.133:                              ;   in Loop: Header=BB2_14 Depth=1
	v_cmp_gt_f32_e32 vcc, 0, v2
	v_cndmask_b32_e64 v3, v28, 0, vcc
	v_cmp_gt_f32_e32 vcc, 0, v1
	v_xor_b32_e32 v2, v3, v2
	v_cndmask_b32_e64 v4, v28, 0, vcc
	v_xor_b32_e32 v1, v2, v1
	v_xor_b32_e32 v1, v1, v4
	v_cmp_gt_u32_e32 vcc, s67, v1
	v_cndmask_b32_e64 v1, 0, 1, vcc
	ds_write_b8 v16, v1 offset:25536
.LBB2_134:                              ;   in Loop: Header=BB2_14 Depth=1
	s_or_b64 exec, exec, s[12:13]
	s_waitcnt lgkmcnt(0)
	s_barrier
	ds_read_u8 v1, v16 offset:25536
	s_waitcnt lgkmcnt(0)
	v_readfirstlane_b32 s12, v1
	s_bitcmp1_b32 s12, 0
	s_cselect_b64 s[38:39], -1, 0
.LBB2_135:                              ;   in Loop: Header=BB2_14 Depth=1
	s_and_b64 s[12:13], s[38:39], exec
	s_cselect_b32 s20, 0x800, 0
	s_waitcnt lgkmcnt(0)
	v_or_b32_e32 v1, s20, v0
	v_lshlrev_b32_e32 v1, 2, v1
	v_add_u32_e32 v2, 0x280, v1
	v_mov_b32_e32 v3, s35
	s_barrier
	flat_load_dword v10, v[2:3] glc
	s_waitcnt vmcnt(0)
	v_add_u32_e32 v4, 0x1280, v1
	v_mov_b32_e32 v5, s35
	flat_load_dword v1, v[4:5] glc
	s_waitcnt vmcnt(0) lgkmcnt(0)
	ds_write_b32 v13, v10
	ds_write_b32 v14, v1 offset:4096
	s_waitcnt lgkmcnt(0)
	s_barrier
	ds_read2_b32 v[10:11], v15 offset1:1
	s_waitcnt lgkmcnt(0)
	s_barrier
	v_add_u32_e32 v1, v11, v10
	ds_write_b32 v13, v1
	s_waitcnt lgkmcnt(0)
	s_barrier
	s_and_saveexec_b64 s[12:13], s[4:5]
	s_cbranch_execz .LBB2_137
; %bb.136:                              ;   in Loop: Header=BB2_14 Depth=1
	ds_read2_b32 v[30:31], v18 offset1:1
	ds_read2_b32 v[32:33], v18 offset0:2 offset1:3
	ds_read2_b32 v[34:35], v18 offset0:4 offset1:5
	;; [unrolled: 1-line block ×3, first 2 shown]
	v_and_b32_e32 v29, 15, v26
	s_waitcnt lgkmcnt(3)
	v_add_u32_e32 v12, v31, v30
	s_waitcnt lgkmcnt(2)
	v_add3_u32 v12, v12, v32, v33
	s_waitcnt lgkmcnt(1)
	v_add3_u32 v12, v12, v34, v35
	ds_read2_b32 v[32:33], v18 offset0:8 offset1:9
	ds_read2_b32 v[34:35], v18 offset0:10 offset1:11
	;; [unrolled: 1-line block ×4, first 2 shown]
	s_waitcnt lgkmcnt(4)
	v_add3_u32 v12, v12, v36, v37
	s_waitcnt lgkmcnt(3)
	v_add3_u32 v12, v12, v32, v33
	;; [unrolled: 2-line block ×5, first 2 shown]
	v_cmp_ne_u32_e32 vcc, 0, v29
	s_nop 0
	v_mov_b32_dpp v31, v12 row_shr:1 row_mask:0xf bank_mask:0xf
	v_cndmask_b32_e32 v31, 0, v31, vcc
	v_add_u32_e32 v12, v31, v12
	v_cmp_lt_u32_e32 vcc, 1, v29
	; wave barrier
	s_nop 0
	v_mov_b32_dpp v31, v12 row_shr:2 row_mask:0xf bank_mask:0xf
	v_cndmask_b32_e32 v31, 0, v31, vcc
	v_add_u32_e32 v12, v12, v31
	v_cmp_lt_u32_e32 vcc, 3, v29
	s_nop 0
	v_mov_b32_dpp v31, v12 row_shr:4 row_mask:0xf bank_mask:0xf
	v_cndmask_b32_e32 v31, 0, v31, vcc
	v_add_u32_e32 v12, v12, v31
	v_cmp_lt_u32_e32 vcc, 7, v29
	s_nop 0
	v_mov_b32_dpp v31, v12 row_shr:8 row_mask:0xf bank_mask:0xf
	v_cndmask_b32_e32 v29, 0, v31, vcc
	v_add_u32_e32 v12, v12, v29
	v_bfe_i32 v31, v26, 4, 1
	v_cmp_lt_u32_e32 vcc, 31, v26
	v_mov_b32_dpp v29, v12 row_bcast:15 row_mask:0xf bank_mask:0xf
	v_and_b32_e32 v29, v31, v29
	v_add_u32_e32 v12, v12, v29
	v_and_b32_e32 v31, 64, v26
	s_nop 0
	v_mov_b32_dpp v29, v12 row_bcast:31 row_mask:0xf bank_mask:0xf
	v_cndmask_b32_e32 v29, 0, v29, vcc
	v_add_u32_e32 v12, v12, v29
	v_add_u32_e32 v29, -1, v26
	v_cmp_lt_i32_e32 vcc, v29, v31
	v_cndmask_b32_e32 v29, v29, v26, vcc
	v_lshlrev_b32_e32 v29, 2, v29
	ds_bpermute_b32 v12, v29, v12
	s_waitcnt lgkmcnt(0)
	v_add_u32_e32 v12, v12, v30
	v_cndmask_b32_e64 v12, v12, v1, s[2:3]
	ds_write_b32 v18, v12
	; wave barrier
	ds_read2_b32 v[30:31], v18 offset0:1 offset1:2
	ds_read2_b32 v[32:33], v18 offset0:3 offset1:4
	;; [unrolled: 1-line block ×4, first 2 shown]
	s_waitcnt lgkmcnt(3)
	v_add_u32_e32 v12, v30, v12
	v_add_u32_e32 v29, v31, v12
	ds_write2_b32 v18, v12, v29 offset0:1 offset1:2
	s_waitcnt lgkmcnt(3)
	v_add_u32_e32 v12, v32, v29
	v_add_u32_e32 v29, v33, v12
	ds_write2_b32 v18, v12, v29 offset0:3 offset1:4
	s_waitcnt lgkmcnt(3)
	v_add_u32_e32 v12, v34, v29
	v_add_u32_e32 v29, v35, v12
	ds_read2_b32 v[30:31], v18 offset0:9 offset1:10
	ds_write2_b32 v18, v12, v29 offset0:5 offset1:6
	s_waitcnt lgkmcnt(4)
	v_add_u32_e32 v12, v36, v29
	v_add_u32_e32 v29, v37, v12
	ds_write2_b32 v18, v12, v29 offset0:7 offset1:8
	ds_read2_b32 v[32:33], v18 offset0:11 offset1:12
	ds_read2_b32 v[34:35], v18 offset0:13 offset1:14
	ds_read_b32 v12, v18 offset:60
	s_waitcnt lgkmcnt(5)
	v_add_u32_e32 v29, v30, v29
	v_add_u32_e32 v30, v31, v29
	ds_write2_b32 v18, v29, v30 offset0:9 offset1:10
	s_waitcnt lgkmcnt(3)
	v_add_u32_e32 v29, v32, v30
	v_add_u32_e32 v30, v33, v29
	ds_write2_b32 v18, v29, v30 offset0:11 offset1:12
	s_waitcnt lgkmcnt(3)
	v_add_u32_e32 v29, v34, v30
	v_add_u32_e32 v30, v35, v29
	s_waitcnt lgkmcnt(2)
	v_add_u32_e32 v12, v12, v30
	ds_write2_b32 v18, v29, v30 offset0:13 offset1:14
	ds_write_b32 v18, v12 offset:60
.LBB2_137:                              ;   in Loop: Header=BB2_14 Depth=1
	s_or_b64 exec, exec, s[12:13]
	v_mov_b32_e32 v29, v1
	s_waitcnt lgkmcnt(0)
	s_barrier
	s_and_saveexec_b64 s[12:13], s[0:1]
	s_cbranch_execz .LBB2_139
; %bb.138:                              ;   in Loop: Header=BB2_14 Depth=1
	ds_read_b32 v29, v19
.LBB2_139:                              ;   in Loop: Header=BB2_14 Depth=1
	s_or_b64 exec, exec, s[12:13]
	v_mov_b32_e32 v12, v10
	s_and_saveexec_b64 s[12:13], s[0:1]
	s_cbranch_execz .LBB2_141
; %bb.140:                              ;   in Loop: Header=BB2_14 Depth=1
	s_waitcnt lgkmcnt(0)
	v_add_u32_e32 v12, v29, v10
	v_add_u32_e32 v1, v12, v11
	;;#ASMSTART
	;;#ASMEND
.LBB2_141:                              ;   in Loop: Header=BB2_14 Depth=1
	s_or_b64 exec, exec, s[12:13]
	s_waitcnt lgkmcnt(0)
	s_barrier
	ds_write2_b32 v15, v12, v1 offset1:1
	s_waitcnt lgkmcnt(0)
	s_barrier
	ds_read_b32 v1, v13
	ds_read_b32 v10, v14 offset:4096
	s_and_b64 s[12:13], s[38:39], exec
	s_waitcnt lgkmcnt(1)
	flat_store_dword v[2:3], v1
	s_waitcnt vmcnt(0) lgkmcnt(0)
	flat_store_dword v[4:5], v10
	s_waitcnt vmcnt(0) lgkmcnt(0)
	s_barrier
	s_cselect_b32 s12, 3, 0
	ds_read_b32 v1, v16 offset:12
	s_add_i32 s12, s12, s68
	s_mul_i32 s12, s12, -11
	s_max_i32 s40, s12, 0xffffffeb
	s_add_i32 s40, s40, 21
	v_lshl_add_u32 v2, s20, 2, v21
	s_mov_b64 s[36:37], 0
	v_mov_b32_e32 v3, v0
	s_branch .LBB2_143
.LBB2_142:                              ;   in Loop: Header=BB2_143 Depth=2
	s_or_b64 exec, exec, s[12:13]
	v_add_u32_e32 v3, s56, v3
	v_cmp_lt_u32_e32 vcc, s66, v3
	s_or_b64 s[36:37], vcc, s[36:37]
	v_add_u32_e32 v2, s64, v2
	s_andn2_b64 exec, exec, s[36:37]
	s_cbranch_execz .LBB2_147
.LBB2_143:                              ;   Parent Loop BB2_14 Depth=1
                                        ; =>  This Inner Loop Header: Depth=2
	v_cmp_ne_u32_e32 vcc, 0, v3
	v_mov_b32_e32 v4, 0
	s_and_saveexec_b64 s[12:13], vcc
	s_cbranch_execz .LBB2_145
; %bb.144:                              ;   in Loop: Header=BB2_143 Depth=2
	ds_read_b32 v4, v2
.LBB2_145:                              ;   in Loop: Header=BB2_143 Depth=2
	s_or_b64 exec, exec, s[12:13]
	ds_read_b32 v5, v2 offset:4
	s_waitcnt lgkmcnt(1)
	v_cmp_gt_i32_e32 vcc, s69, v4
	s_waitcnt lgkmcnt(0)
	v_cmp_le_i32_e64 s[12:13], s69, v5
	s_and_b64 s[42:43], vcc, s[12:13]
	s_and_saveexec_b64 s[12:13], s[42:43]
	s_cbranch_execz .LBB2_142
; %bb.146:                              ;   in Loop: Header=BB2_143 Depth=2
	v_sub_u32_e32 v5, v5, v4
	v_sub_u32_e32 v4, s69, v4
	v_lshl_or_b32 v1, v3, s40, v1
	ds_write_b64 v16, v[4:5]
	ds_write_b32 v16, v1 offset:12
	s_branch .LBB2_142
.LBB2_147:                              ;   in Loop: Header=BB2_14 Depth=1
	s_or_b64 exec, exec, s[36:37]
	s_and_saveexec_b64 s[12:13], s[2:3]
	s_cbranch_execz .LBB2_149
; %bb.148:                              ;   in Loop: Header=BB2_14 Depth=1
	v_mov_b32_e32 v1, s58
	ds_write_b32 v16, v1 offset:8
.LBB2_149:                              ;   in Loop: Header=BB2_14 Depth=1
	s_or_b64 exec, exec, s[12:13]
	s_cmp_lg_u32 s68, 2
	s_cselect_b64 s[36:37], -1, 0
	s_xor_b64 s[40:41], s[38:39], -1
	s_and_b64 s[36:37], s[36:37], s[40:41]
	s_mov_b64 s[12:13], -1
	s_and_b64 vcc, exec, s[36:37]
	s_mov_b64 s[36:37], -1
	s_waitcnt lgkmcnt(0)
	s_barrier
	s_waitcnt lgkmcnt(0)
                                        ; implicit-def: $vgpr2
	s_cbranch_vccz .LBB2_13
; %bb.150:                              ;   in Loop: Header=BB2_14 Depth=1
	ds_read_b64 v[2:3], v16
	s_add_i32 s68, s68, 1
	s_mov_b64 s[12:13], 0
	s_waitcnt lgkmcnt(0)
	v_cmp_eq_u32_e64 s[36:37], v3, v2
	s_branch .LBB2_13
.LBB2_151:
	s_andn2_b64 vcc, exec, s[12:13]
	s_mov_b64 s[0:1], -1
	s_cbranch_vccz .LBB2_188
; %bb.152:
	v_mov_b32_e32 v1, 0
	ds_read_b32 v1, v1 offset:12
	s_cmp_eq_u64 s[18:19], 0
	s_cselect_b32 s3, s17, s60
	s_cselect_b32 s2, s16, s59
	;; [unrolled: 1-line block ×5, first 2 shown]
	s_cmp_eq_u64 s[2:3], 0
	v_cmp_gt_i32_e64 s[0:1], s23, v0
	s_cbranch_scc1 .LBB2_168
; %bb.153:
	s_and_saveexec_b64 s[4:5], s[0:1]
	s_cbranch_execz .LBB2_167
; %bb.154:
	s_lshl_b32 s25, -1, s34
	s_mov_b64 s[6:7], 0
	v_mov_b32_e32 v3, s24
	v_bfrev_b32_e32 v8, -2
	v_mov_b32_e32 v9, 0
	v_mov_b32_e32 v4, v0
	s_branch .LBB2_157
.LBB2_155:                              ;   in Loop: Header=BB2_157 Depth=1
	s_or_b64 exec, exec, s[10:11]
	v_mov_b32_e32 v12, s3
	s_waitcnt vmcnt(0)
	v_add_co_u32_e32 v6, vcc, s2, v6
	v_addc_co_u32_e32 v7, vcc, v12, v7, vcc
	flat_load_dword v12, v[6:7]
	s_waitcnt lgkmcnt(0)
	v_readfirstlane_b32 s10, v11
	v_add_u32_e32 v6, s10, v10
	v_ashrrev_i32_e32 v7, 31, v6
	v_lshlrev_b64 v[6:7], 2, v[6:7]
	v_mov_b32_e32 v11, s53
	v_add_co_u32_e32 v10, vcc, s52, v6
	v_addc_co_u32_e32 v11, vcc, v11, v7, vcc
	global_store_dword v[10:11], v5, off
	v_mov_b32_e32 v5, s55
	v_add_co_u32_e32 v6, vcc, s54, v6
	v_addc_co_u32_e32 v7, vcc, v5, v7, vcc
	s_waitcnt vmcnt(0)
	global_store_dword v[6:7], v12, off
.LBB2_156:                              ;   in Loop: Header=BB2_157 Depth=1
	s_or_b64 exec, exec, s[8:9]
	v_add_u32_e32 v4, s56, v4
	v_cmp_le_i32_e32 vcc, s23, v4
	s_or_b64 s[6:7], vcc, s[6:7]
	s_andn2_b64 exec, exec, s[6:7]
	s_cbranch_execz .LBB2_167
.LBB2_157:                              ; =>This Inner Loop Header: Depth=1
	v_ashrrev_i32_e32 v5, 31, v4
	s_waitcnt vmcnt(0)
	v_lshlrev_b64 v[6:7], 2, v[4:5]
	v_add_co_u32_e32 v10, vcc, s22, v6
	v_addc_co_u32_e32 v11, vcc, v3, v7, vcc
	flat_load_dword v5, v[10:11]
	s_waitcnt vmcnt(0) lgkmcnt(0)
	v_cmp_gt_f32_e32 vcc, 0, v5
	v_cndmask_b32_e64 v10, v8, 0, vcc
	v_xor_b32_e32 v10, v10, v5
	v_and_b32_e32 v10, s25, v10
	v_cmp_ge_u32_e32 vcc, v10, v1
	s_and_saveexec_b64 s[8:9], vcc
	s_xor_b64 s[8:9], exec, s[8:9]
	s_cbranch_execz .LBB2_164
; %bb.158:                              ;   in Loop: Header=BB2_157 Depth=1
	v_cmp_eq_u32_e32 vcc, v10, v1
	s_and_saveexec_b64 s[10:11], vcc
	s_cbranch_execz .LBB2_163
; %bb.159:                              ;   in Loop: Header=BB2_157 Depth=1
	v_mov_b32_e32 v10, s3
	v_add_co_u32_e32 v6, vcc, s2, v6
	v_addc_co_u32_e32 v7, vcc, v10, v7, vcc
	flat_load_dword v6, v[6:7]
	s_mov_b64 s[12:13], exec
	v_mbcnt_lo_u32_b32 v7, s12, 0
	v_mbcnt_hi_u32_b32 v7, s13, v7
	v_cmp_eq_u32_e32 vcc, 0, v7
                                        ; implicit-def: $vgpr10
	s_and_saveexec_b64 s[20:21], vcc
	s_cbranch_execz .LBB2_161
; %bb.160:                              ;   in Loop: Header=BB2_157 Depth=1
	s_bcnt1_i32_b64 s12, s[12:13]
	v_mov_b32_e32 v10, s12
	ds_add_rtn_u32 v10, v9, v10 offset:512
.LBB2_161:                              ;   in Loop: Header=BB2_157 Depth=1
	s_or_b64 exec, exec, s[20:21]
	s_waitcnt lgkmcnt(0)
	v_readfirstlane_b32 s12, v10
	v_add_u32_e32 v7, s12, v7
	v_cmp_lt_i32_e32 vcc, v7, v2
	s_and_b64 exec, exec, vcc
	s_cbranch_execz .LBB2_163
; %bb.162:                              ;   in Loop: Header=BB2_157 Depth=1
	v_xad_u32 v10, v7, -1, s33
	v_ashrrev_i32_e32 v11, 31, v10
	v_lshlrev_b64 v[10:11], 2, v[10:11]
	v_mov_b32_e32 v7, s53
	v_add_co_u32_e32 v12, vcc, s52, v10
	v_addc_co_u32_e32 v13, vcc, v7, v11, vcc
	v_mov_b32_e32 v7, s55
	v_add_co_u32_e32 v10, vcc, s54, v10
	v_addc_co_u32_e32 v11, vcc, v7, v11, vcc
	global_store_dword v[12:13], v5, off
	s_waitcnt vmcnt(0)
	global_store_dword v[10:11], v6, off
.LBB2_163:                              ;   in Loop: Header=BB2_157 Depth=1
	s_or_b64 exec, exec, s[10:11]
                                        ; implicit-def: $vgpr5
                                        ; implicit-def: $vgpr6_vgpr7
.LBB2_164:                              ;   in Loop: Header=BB2_157 Depth=1
	s_andn2_saveexec_b64 s[8:9], s[8:9]
	s_cbranch_execz .LBB2_156
; %bb.165:                              ;   in Loop: Header=BB2_157 Depth=1
	s_mov_b64 s[12:13], exec
	v_mbcnt_lo_u32_b32 v10, s12, 0
	v_mbcnt_hi_u32_b32 v10, s13, v10
	v_cmp_eq_u32_e32 vcc, 0, v10
                                        ; implicit-def: $vgpr11
	s_and_saveexec_b64 s[10:11], vcc
	s_cbranch_execz .LBB2_155
; %bb.166:                              ;   in Loop: Header=BB2_157 Depth=1
	s_bcnt1_i32_b64 s12, s[12:13]
	v_mov_b32_e32 v11, s12
	ds_add_rtn_u32 v11, v9, v11 offset:384
	s_branch .LBB2_155
.LBB2_167:
	s_or_b64 exec, exec, s[4:5]
	s_cbranch_execz .LBB2_169
	s_branch .LBB2_187
.LBB2_168:
.LBB2_169:
	s_and_saveexec_b64 s[2:3], s[0:1]
	s_cbranch_execz .LBB2_186
; %bb.170:
	s_lshl_b32 s12, -1, s34
	s_mov_b64 s[0:1], 0
	v_mov_b32_e32 v3, s24
	v_bfrev_b32_e32 v8, -2
	v_mov_b32_e32 v9, 0
	v_mov_b32_e32 v4, v0
	s_branch .LBB2_172
.LBB2_171:                              ;   in Loop: Header=BB2_172 Depth=1
	s_or_b64 exec, exec, s[4:5]
	v_add_u32_e32 v4, s56, v4
	v_cmp_le_i32_e32 vcc, s23, v4
	s_or_b64 s[0:1], vcc, s[0:1]
	s_andn2_b64 exec, exec, s[0:1]
	s_cbranch_execz .LBB2_186
.LBB2_172:                              ; =>This Inner Loop Header: Depth=1
	v_ashrrev_i32_e32 v5, 31, v4
	s_waitcnt vmcnt(0)
	v_lshlrev_b64 v[6:7], 2, v[4:5]
	v_add_co_u32_e32 v6, vcc, s22, v6
	v_addc_co_u32_e32 v7, vcc, v3, v7, vcc
	flat_load_dword v5, v[6:7]
	s_mov_b64 s[6:7], 0
	s_waitcnt vmcnt(0) lgkmcnt(0)
	v_cmp_gt_f32_e32 vcc, 0, v5
	v_cndmask_b32_e64 v6, v8, 0, vcc
	v_xor_b32_e32 v6, v6, v5
	v_and_b32_e32 v7, s12, v6
	v_cmp_ge_u32_e32 vcc, v7, v1
                                        ; implicit-def: $vgpr6
	s_and_saveexec_b64 s[4:5], vcc
	s_xor_b64 s[4:5], exec, s[4:5]
	s_cbranch_execnz .LBB2_175
; %bb.173:                              ;   in Loop: Header=BB2_172 Depth=1
	s_andn2_saveexec_b64 s[4:5], s[4:5]
	s_cbranch_execnz .LBB2_182
.LBB2_174:                              ;   in Loop: Header=BB2_172 Depth=1
	s_or_b64 exec, exec, s[4:5]
	s_and_saveexec_b64 s[4:5], s[6:7]
	s_cbranch_execz .LBB2_171
	s_branch .LBB2_185
.LBB2_175:                              ;   in Loop: Header=BB2_172 Depth=1
	v_cmp_eq_u32_e32 vcc, v7, v1
	s_mov_b64 s[8:9], 0
                                        ; implicit-def: $vgpr6
	s_and_saveexec_b64 s[6:7], vcc
	s_cbranch_execz .LBB2_181
; %bb.176:                              ;   in Loop: Header=BB2_172 Depth=1
	s_mov_b64 s[10:11], exec
	v_mbcnt_lo_u32_b32 v6, s10, 0
	v_mbcnt_hi_u32_b32 v6, s11, v6
	v_cmp_eq_u32_e32 vcc, 0, v6
                                        ; implicit-def: $vgpr7
	s_and_saveexec_b64 s[8:9], vcc
	s_cbranch_execz .LBB2_178
; %bb.177:                              ;   in Loop: Header=BB2_172 Depth=1
	s_bcnt1_i32_b64 s10, s[10:11]
	v_mov_b32_e32 v7, s10
	ds_add_rtn_u32 v7, v9, v7 offset:512
.LBB2_178:                              ;   in Loop: Header=BB2_172 Depth=1
	s_or_b64 exec, exec, s[8:9]
	s_waitcnt lgkmcnt(0)
	v_readfirstlane_b32 s8, v7
	v_add_u32_e32 v7, s8, v6
	v_cmp_lt_i32_e32 vcc, v7, v2
	s_mov_b64 s[8:9], 0
                                        ; implicit-def: $vgpr6
	s_and_saveexec_b64 s[10:11], vcc
	s_xor_b64 s[10:11], exec, s[10:11]
; %bb.179:                              ;   in Loop: Header=BB2_172 Depth=1
	s_mov_b64 s[8:9], exec
	v_xad_u32 v6, v7, -1, s33
; %bb.180:                              ;   in Loop: Header=BB2_172 Depth=1
	s_or_b64 exec, exec, s[10:11]
	s_and_b64 s[8:9], s[8:9], exec
.LBB2_181:                              ;   in Loop: Header=BB2_172 Depth=1
	s_or_b64 exec, exec, s[6:7]
	s_and_b64 s[6:7], s[8:9], exec
	s_andn2_saveexec_b64 s[4:5], s[4:5]
	s_cbranch_execz .LBB2_174
.LBB2_182:                              ;   in Loop: Header=BB2_172 Depth=1
	s_mov_b64 s[10:11], exec
	v_mbcnt_lo_u32_b32 v6, s10, 0
	v_mbcnt_hi_u32_b32 v6, s11, v6
	v_cmp_eq_u32_e32 vcc, 0, v6
                                        ; implicit-def: $vgpr7
	s_and_saveexec_b64 s[8:9], vcc
	s_cbranch_execz .LBB2_184
; %bb.183:                              ;   in Loop: Header=BB2_172 Depth=1
	s_bcnt1_i32_b64 s10, s[10:11]
	v_mov_b32_e32 v7, s10
	ds_add_rtn_u32 v7, v9, v7 offset:384
.LBB2_184:                              ;   in Loop: Header=BB2_172 Depth=1
	s_or_b64 exec, exec, s[8:9]
	s_waitcnt lgkmcnt(0)
	v_readfirstlane_b32 s8, v7
	v_add_u32_e32 v6, s8, v6
	s_or_b64 s[6:7], s[6:7], exec
	s_or_b64 exec, exec, s[4:5]
	s_and_saveexec_b64 s[4:5], s[6:7]
	s_cbranch_execz .LBB2_171
.LBB2_185:                              ;   in Loop: Header=BB2_172 Depth=1
	v_ashrrev_i32_e32 v7, 31, v6
	v_lshlrev_b64 v[6:7], 2, v[6:7]
	v_mov_b32_e32 v11, s53
	v_add_co_u32_e32 v10, vcc, s52, v6
	v_addc_co_u32_e32 v11, vcc, v11, v7, vcc
	global_store_dword v[10:11], v5, off
	v_mov_b32_e32 v5, s55
	v_add_co_u32_e32 v6, vcc, s54, v6
	v_addc_co_u32_e32 v7, vcc, v5, v7, vcc
	global_store_dword v[6:7], v4, off
	s_branch .LBB2_171
.LBB2_186:
	s_or_b64 exec, exec, s[2:3]
.LBB2_187:
	s_mov_b64 s[0:1], 0
.LBB2_188:
	s_andn2_b64 vcc, exec, s[0:1]
	s_cbranch_vccnz .LBB2_231
; %bb.189:
	s_waitcnt lgkmcnt(0)
	v_mov_b32_e32 v1, 0
	ds_read2_b32 v[2:3], v1 offset1:3
	s_xor_b64 s[4:5], s[38:39], -1
	s_cmp_eq_u64 s[18:19], 0
	s_cselect_b32 s20, s15, s19
	s_cselect_b32 s7, s17, s60
	;; [unrolled: 1-line block ×5, first 2 shown]
	s_cmp_eq_u64 s[6:7], 0
	v_cmp_gt_i32_e64 s[0:1], s19, v0
	s_cbranch_scc1 .LBB2_209
; %bb.190:
	s_and_saveexec_b64 s[8:9], s[0:1]
	s_cbranch_execz .LBB2_208
; %bb.191:
	s_lshl_b32 s21, -1, s34
	s_mov_b64 s[10:11], 0
	v_mov_b32_e32 v1, s20
	v_mov_b32_e32 v8, 0
	v_bfrev_b32_e32 v9, -2
	v_mov_b32_e32 v10, 0x7ff
	v_mov_b32_e32 v4, v0
	s_branch .LBB2_194
.LBB2_192:                              ;   in Loop: Header=BB2_194 Depth=1
	s_or_b64 exec, exec, s[12:13]
	v_mov_b32_e32 v13, s7
	s_waitcnt vmcnt(0)
	v_add_co_u32_e32 v6, vcc, s6, v6
	v_addc_co_u32_e32 v7, vcc, v13, v7, vcc
	flat_load_dword v14, v[6:7]
	s_waitcnt lgkmcnt(0)
	v_readfirstlane_b32 s12, v12
	v_add_u32_e32 v6, s12, v11
	v_ashrrev_i32_e32 v7, 31, v6
	v_lshlrev_b64 v[6:7], 2, v[6:7]
	v_mov_b32_e32 v11, s53
	v_add_co_u32_e32 v12, vcc, s52, v6
	v_addc_co_u32_e32 v13, vcc, v11, v7, vcc
	global_store_dword v[12:13], v5, off
	v_mov_b32_e32 v5, s55
	v_add_co_u32_e32 v6, vcc, s54, v6
	v_addc_co_u32_e32 v7, vcc, v5, v7, vcc
	s_waitcnt vmcnt(0)
	global_store_dword v[6:7], v14, off
.LBB2_193:                              ;   in Loop: Header=BB2_194 Depth=1
	s_or_b64 exec, exec, s[2:3]
	v_add_u32_e32 v4, s56, v4
	v_cmp_le_i32_e32 vcc, s19, v4
	s_or_b64 s[10:11], vcc, s[10:11]
	s_andn2_b64 exec, exec, s[10:11]
	s_cbranch_execz .LBB2_208
.LBB2_194:                              ; =>This Inner Loop Header: Depth=1
	v_ashrrev_i32_e32 v5, 31, v4
	s_waitcnt vmcnt(0)
	v_lshlrev_b64 v[6:7], 2, v[4:5]
	v_add_co_u32_e32 v12, vcc, s18, v6
	v_addc_co_u32_e32 v13, vcc, v1, v7, vcc
	flat_load_dword v5, v[12:13]
	s_and_b64 vcc, exec, s[4:5]
	s_waitcnt vmcnt(0) lgkmcnt(0)
	v_cmp_gt_f32_e64 s[2:3], 0, v5
	s_cbranch_vccz .LBB2_196
; %bb.195:                              ;   in Loop: Header=BB2_194 Depth=1
	v_cndmask_b32_e64 v11, v9, 0, s[2:3]
	v_xor_b32_e32 v11, v11, v5
	v_and_b32_e32 v11, s21, v11
	s_cbranch_execz .LBB2_197
	s_branch .LBB2_198
.LBB2_196:                              ;   in Loop: Header=BB2_194 Depth=1
                                        ; implicit-def: $vgpr11
.LBB2_197:                              ;   in Loop: Header=BB2_194 Depth=1
	v_cndmask_b32_e64 v11, v10, 0, s[2:3]
	v_and_b32_e32 v12, 0x7ff, v5
	v_xor_b32_e32 v11, v11, v12
.LBB2_198:                              ;   in Loop: Header=BB2_194 Depth=1
	v_cmp_ge_u32_e32 vcc, v11, v3
	s_and_saveexec_b64 s[2:3], vcc
	s_xor_b64 s[2:3], exec, s[2:3]
	s_cbranch_execnz .LBB2_200
; %bb.199:                              ;   in Loop: Header=BB2_194 Depth=1
	s_andn2_saveexec_b64 s[2:3], s[2:3]
	s_cbranch_execz .LBB2_193
	s_branch .LBB2_206
.LBB2_200:                              ;   in Loop: Header=BB2_194 Depth=1
	v_cmp_eq_u32_e32 vcc, v11, v3
	s_and_saveexec_b64 s[12:13], vcc
	s_cbranch_execz .LBB2_205
; %bb.201:                              ;   in Loop: Header=BB2_194 Depth=1
	v_mov_b32_e32 v11, s7
	v_add_co_u32_e32 v6, vcc, s6, v6
	v_addc_co_u32_e32 v7, vcc, v11, v7, vcc
	flat_load_dword v6, v[6:7]
	s_mov_b64 s[14:15], exec
	v_mbcnt_lo_u32_b32 v7, s14, 0
	v_mbcnt_hi_u32_b32 v7, s15, v7
	v_cmp_eq_u32_e32 vcc, 0, v7
                                        ; implicit-def: $vgpr11
	s_and_saveexec_b64 s[16:17], vcc
	s_cbranch_execz .LBB2_203
; %bb.202:                              ;   in Loop: Header=BB2_194 Depth=1
	s_bcnt1_i32_b64 s14, s[14:15]
	v_mov_b32_e32 v11, s14
	ds_add_rtn_u32 v11, v8, v11 offset:512
.LBB2_203:                              ;   in Loop: Header=BB2_194 Depth=1
	s_or_b64 exec, exec, s[16:17]
	s_waitcnt lgkmcnt(0)
	v_readfirstlane_b32 s14, v11
	v_add_u32_e32 v7, s14, v7
	v_cmp_lt_i32_e32 vcc, v7, v2
	s_and_b64 exec, exec, vcc
	s_cbranch_execz .LBB2_205
; %bb.204:                              ;   in Loop: Header=BB2_194 Depth=1
	v_xad_u32 v12, v7, -1, s33
	v_ashrrev_i32_e32 v13, 31, v12
	v_lshlrev_b64 v[12:13], 2, v[12:13]
	v_mov_b32_e32 v7, s53
	v_add_co_u32_e32 v14, vcc, s52, v12
	v_addc_co_u32_e32 v15, vcc, v7, v13, vcc
	v_mov_b32_e32 v7, s55
	v_add_co_u32_e32 v12, vcc, s54, v12
	v_addc_co_u32_e32 v13, vcc, v7, v13, vcc
	global_store_dword v[14:15], v5, off
	s_waitcnt vmcnt(0)
	global_store_dword v[12:13], v6, off
.LBB2_205:                              ;   in Loop: Header=BB2_194 Depth=1
	s_or_b64 exec, exec, s[12:13]
                                        ; implicit-def: $vgpr5
                                        ; implicit-def: $vgpr6_vgpr7
	s_andn2_saveexec_b64 s[2:3], s[2:3]
	s_cbranch_execz .LBB2_193
.LBB2_206:                              ;   in Loop: Header=BB2_194 Depth=1
	s_mov_b64 s[14:15], exec
	v_mbcnt_lo_u32_b32 v11, s14, 0
	v_mbcnt_hi_u32_b32 v11, s15, v11
	v_cmp_eq_u32_e32 vcc, 0, v11
                                        ; implicit-def: $vgpr12
	s_and_saveexec_b64 s[12:13], vcc
	s_cbranch_execz .LBB2_192
; %bb.207:                              ;   in Loop: Header=BB2_194 Depth=1
	s_bcnt1_i32_b64 s14, s[14:15]
	v_mov_b32_e32 v12, s14
	ds_add_rtn_u32 v12, v8, v12 offset:384
	s_branch .LBB2_192
.LBB2_208:
	s_or_b64 exec, exec, s[8:9]
	s_cbranch_execz .LBB2_210
	s_branch .LBB2_231
.LBB2_209:
.LBB2_210:
	s_and_saveexec_b64 s[2:3], s[0:1]
	s_cbranch_execz .LBB2_231
; %bb.211:
	s_lshl_b32 s12, -1, s34
	s_mov_b64 s[2:3], 0
	s_waitcnt vmcnt(0)
	v_mov_b32_e32 v6, s20
	v_mov_b32_e32 v7, 0
	v_bfrev_b32_e32 v8, -2
	v_mov_b32_e32 v9, 0x7ff
	s_branch .LBB2_213
.LBB2_212:                              ;   in Loop: Header=BB2_213 Depth=1
	s_or_b64 exec, exec, s[0:1]
	v_add_u32_e32 v0, s56, v0
	v_cmp_le_i32_e32 vcc, s19, v0
	s_or_b64 s[2:3], vcc, s[2:3]
	s_andn2_b64 exec, exec, s[2:3]
	s_cbranch_execz .LBB2_231
.LBB2_213:                              ; =>This Inner Loop Header: Depth=1
	v_ashrrev_i32_e32 v1, 31, v0
	v_lshlrev_b64 v[4:5], 2, v[0:1]
	v_add_co_u32_e32 v4, vcc, s18, v4
	v_addc_co_u32_e32 v5, vcc, v6, v5, vcc
	flat_load_dword v1, v[4:5]
	s_and_b64 vcc, exec, s[4:5]
	s_waitcnt vmcnt(0) lgkmcnt(0)
	v_cmp_gt_f32_e64 s[0:1], 0, v1
	s_cbranch_vccz .LBB2_215
; %bb.214:                              ;   in Loop: Header=BB2_213 Depth=1
	v_cndmask_b32_e64 v4, v8, 0, s[0:1]
	v_xor_b32_e32 v4, v4, v1
	v_and_b32_e32 v5, s12, v4
	s_cbranch_execz .LBB2_216
	s_branch .LBB2_217
.LBB2_215:                              ;   in Loop: Header=BB2_213 Depth=1
                                        ; implicit-def: $vgpr5
.LBB2_216:                              ;   in Loop: Header=BB2_213 Depth=1
	v_cndmask_b32_e64 v4, v9, 0, s[0:1]
	v_and_b32_e32 v5, 0x7ff, v1
	v_xor_b32_e32 v5, v4, v5
.LBB2_217:                              ;   in Loop: Header=BB2_213 Depth=1
	v_cmp_ge_u32_e32 vcc, v5, v3
	s_mov_b64 s[6:7], 0
                                        ; implicit-def: $vgpr4
	s_and_saveexec_b64 s[0:1], vcc
	s_xor_b64 s[0:1], exec, s[0:1]
	s_cbranch_execnz .LBB2_220
; %bb.218:                              ;   in Loop: Header=BB2_213 Depth=1
	s_andn2_saveexec_b64 s[0:1], s[0:1]
	s_cbranch_execnz .LBB2_227
.LBB2_219:                              ;   in Loop: Header=BB2_213 Depth=1
	s_or_b64 exec, exec, s[0:1]
	s_and_saveexec_b64 s[0:1], s[6:7]
	s_cbranch_execz .LBB2_212
	s_branch .LBB2_230
.LBB2_220:                              ;   in Loop: Header=BB2_213 Depth=1
	v_cmp_eq_u32_e32 vcc, v5, v3
	s_mov_b64 s[8:9], 0
                                        ; implicit-def: $vgpr4
	s_and_saveexec_b64 s[6:7], vcc
	s_cbranch_execz .LBB2_226
; %bb.221:                              ;   in Loop: Header=BB2_213 Depth=1
	s_mov_b64 s[10:11], exec
	v_mbcnt_lo_u32_b32 v4, s10, 0
	v_mbcnt_hi_u32_b32 v4, s11, v4
	v_cmp_eq_u32_e32 vcc, 0, v4
                                        ; implicit-def: $vgpr5
	s_and_saveexec_b64 s[8:9], vcc
	s_cbranch_execz .LBB2_223
; %bb.222:                              ;   in Loop: Header=BB2_213 Depth=1
	s_bcnt1_i32_b64 s10, s[10:11]
	v_mov_b32_e32 v5, s10
	ds_add_rtn_u32 v5, v7, v5 offset:512
.LBB2_223:                              ;   in Loop: Header=BB2_213 Depth=1
	s_or_b64 exec, exec, s[8:9]
	s_waitcnt lgkmcnt(0)
	v_readfirstlane_b32 s8, v5
	v_add_u32_e32 v5, s8, v4
	v_cmp_lt_i32_e32 vcc, v5, v2
	s_mov_b64 s[8:9], 0
                                        ; implicit-def: $vgpr4
	s_and_saveexec_b64 s[10:11], vcc
	s_xor_b64 s[10:11], exec, s[10:11]
; %bb.224:                              ;   in Loop: Header=BB2_213 Depth=1
	s_mov_b64 s[8:9], exec
	v_xad_u32 v4, v5, -1, s33
; %bb.225:                              ;   in Loop: Header=BB2_213 Depth=1
	s_or_b64 exec, exec, s[10:11]
	s_and_b64 s[8:9], s[8:9], exec
.LBB2_226:                              ;   in Loop: Header=BB2_213 Depth=1
	s_or_b64 exec, exec, s[6:7]
	s_and_b64 s[6:7], s[8:9], exec
	s_andn2_saveexec_b64 s[0:1], s[0:1]
	s_cbranch_execz .LBB2_219
.LBB2_227:                              ;   in Loop: Header=BB2_213 Depth=1
	s_mov_b64 s[10:11], exec
	v_mbcnt_lo_u32_b32 v4, s10, 0
	v_mbcnt_hi_u32_b32 v4, s11, v4
	v_cmp_eq_u32_e32 vcc, 0, v4
                                        ; implicit-def: $vgpr5
	s_and_saveexec_b64 s[8:9], vcc
	s_cbranch_execz .LBB2_229
; %bb.228:                              ;   in Loop: Header=BB2_213 Depth=1
	s_bcnt1_i32_b64 s10, s[10:11]
	v_mov_b32_e32 v5, s10
	ds_add_rtn_u32 v5, v7, v5 offset:384
.LBB2_229:                              ;   in Loop: Header=BB2_213 Depth=1
	s_or_b64 exec, exec, s[8:9]
	s_waitcnt lgkmcnt(0)
	v_readfirstlane_b32 s8, v5
	v_add_u32_e32 v4, s8, v4
	s_or_b64 s[6:7], s[6:7], exec
	s_or_b64 exec, exec, s[0:1]
	s_and_saveexec_b64 s[0:1], s[6:7]
	s_cbranch_execz .LBB2_212
.LBB2_230:                              ;   in Loop: Header=BB2_213 Depth=1
	v_ashrrev_i32_e32 v5, 31, v4
	v_lshlrev_b64 v[4:5], 2, v[4:5]
	v_mov_b32_e32 v11, s53
	v_add_co_u32_e32 v10, vcc, s52, v4
	v_addc_co_u32_e32 v11, vcc, v11, v5, vcc
	global_store_dword v[10:11], v1, off
	v_mov_b32_e32 v1, s55
	v_add_co_u32_e32 v4, vcc, s54, v4
	v_addc_co_u32_e32 v5, vcc, v1, v5, vcc
	global_store_dword v[4:5], v0, off
	s_branch .LBB2_212
.LBB2_231:
	s_endpgm
	.section	.rodata,"a",@progbits
	.p2align	6, 0x0
	.amdhsa_kernel _Z27radix_topk_one_block_kernelIfiLi11ELi1024ELb1ELb0EL5Phase0EEvPKT_PKT0_lS6_S6_S4_PS1_PS4_bPci
		.amdhsa_group_segment_fixed_size 25540
		.amdhsa_private_segment_fixed_size 0
		.amdhsa_kernarg_size 344
		.amdhsa_user_sgpr_count 6
		.amdhsa_user_sgpr_private_segment_buffer 1
		.amdhsa_user_sgpr_dispatch_ptr 0
		.amdhsa_user_sgpr_queue_ptr 0
		.amdhsa_user_sgpr_kernarg_segment_ptr 1
		.amdhsa_user_sgpr_dispatch_id 0
		.amdhsa_user_sgpr_flat_scratch_init 0
		.amdhsa_user_sgpr_kernarg_preload_length 0
		.amdhsa_user_sgpr_kernarg_preload_offset 0
		.amdhsa_user_sgpr_private_segment_size 0
		.amdhsa_uses_dynamic_stack 0
		.amdhsa_system_sgpr_private_segment_wavefront_offset 0
		.amdhsa_system_sgpr_workgroup_id_x 1
		.amdhsa_system_sgpr_workgroup_id_y 0
		.amdhsa_system_sgpr_workgroup_id_z 0
		.amdhsa_system_sgpr_workgroup_info 0
		.amdhsa_system_vgpr_workitem_id 0
		.amdhsa_next_free_vgpr 42
		.amdhsa_next_free_sgpr 73
		.amdhsa_accum_offset 44
		.amdhsa_reserve_vcc 1
		.amdhsa_reserve_flat_scratch 0
		.amdhsa_float_round_mode_32 0
		.amdhsa_float_round_mode_16_64 0
		.amdhsa_float_denorm_mode_32 3
		.amdhsa_float_denorm_mode_16_64 3
		.amdhsa_dx10_clamp 1
		.amdhsa_ieee_mode 1
		.amdhsa_fp16_overflow 0
		.amdhsa_tg_split 0
		.amdhsa_exception_fp_ieee_invalid_op 0
		.amdhsa_exception_fp_denorm_src 0
		.amdhsa_exception_fp_ieee_div_zero 0
		.amdhsa_exception_fp_ieee_overflow 0
		.amdhsa_exception_fp_ieee_underflow 0
		.amdhsa_exception_fp_ieee_inexact 0
		.amdhsa_exception_int_div_zero 0
	.end_amdhsa_kernel
	.section	.text._Z27radix_topk_one_block_kernelIfiLi11ELi1024ELb1ELb0EL5Phase0EEvPKT_PKT0_lS6_S6_S4_PS1_PS4_bPci,"axG",@progbits,_Z27radix_topk_one_block_kernelIfiLi11ELi1024ELb1ELb0EL5Phase0EEvPKT_PKT0_lS6_S6_S4_PS1_PS4_bPci,comdat
.Lfunc_end2:
	.size	_Z27radix_topk_one_block_kernelIfiLi11ELi1024ELb1ELb0EL5Phase0EEvPKT_PKT0_lS6_S6_S4_PS1_PS4_bPci, .Lfunc_end2-_Z27radix_topk_one_block_kernelIfiLi11ELi1024ELb1ELb0EL5Phase0EEvPKT_PKT0_lS6_S6_S4_PS1_PS4_bPci
                                        ; -- End function
	.section	.AMDGPU.csdata,"",@progbits
; Kernel info:
; codeLenInByte = 8008
; NumSgprs: 77
; NumVgprs: 42
; NumAgprs: 0
; TotalNumVgprs: 42
; ScratchSize: 0
; MemoryBound: 0
; FloatMode: 240
; IeeeMode: 1
; LDSByteSize: 25540 bytes/workgroup (compile time only)
; SGPRBlocks: 9
; VGPRBlocks: 5
; NumSGPRsForWavesPerEU: 77
; NumVGPRsForWavesPerEU: 42
; AccumOffset: 44
; Occupancy: 8
; WaveLimiterHint : 0
; COMPUTE_PGM_RSRC2:SCRATCH_EN: 0
; COMPUTE_PGM_RSRC2:USER_SGPR: 6
; COMPUTE_PGM_RSRC2:TRAP_HANDLER: 0
; COMPUTE_PGM_RSRC2:TGID_X_EN: 1
; COMPUTE_PGM_RSRC2:TGID_Y_EN: 0
; COMPUTE_PGM_RSRC2:TGID_Z_EN: 0
; COMPUTE_PGM_RSRC2:TIDIG_COMP_CNT: 0
; COMPUTE_PGM_RSRC3_GFX90A:ACCUM_OFFSET: 10
; COMPUTE_PGM_RSRC3_GFX90A:TG_SPLIT: 0
	.section	.text._Z27radix_topk_one_block_kernelIfiLi11ELi1024ELb0ELb0EL5Phase0EEvPKT_PKT0_lS6_S6_S4_PS1_PS4_bPci,"axG",@progbits,_Z27radix_topk_one_block_kernelIfiLi11ELi1024ELb0ELb0EL5Phase0EEvPKT_PKT0_lS6_S6_S4_PS1_PS4_bPci,comdat
	.protected	_Z27radix_topk_one_block_kernelIfiLi11ELi1024ELb0ELb0EL5Phase0EEvPKT_PKT0_lS6_S6_S4_PS1_PS4_bPci ; -- Begin function _Z27radix_topk_one_block_kernelIfiLi11ELi1024ELb0ELb0EL5Phase0EEvPKT_PKT0_lS6_S6_S4_PS1_PS4_bPci
	.globl	_Z27radix_topk_one_block_kernelIfiLi11ELi1024ELb0ELb0EL5Phase0EEvPKT_PKT0_lS6_S6_S4_PS1_PS4_bPci
	.p2align	8
	.type	_Z27radix_topk_one_block_kernelIfiLi11ELi1024ELb0ELb0EL5Phase0EEvPKT_PKT0_lS6_S6_S4_PS1_PS4_bPci,@function
_Z27radix_topk_one_block_kernelIfiLi11ELi1024ELb0ELb0EL5Phase0EEvPKT_PKT0_lS6_S6_S4_PS1_PS4_bPci: ; @_Z27radix_topk_one_block_kernelIfiLi11ELi1024ELb0ELb0EL5Phase0EEvPKT_PKT0_lS6_S6_S4_PS1_PS4_bPci
; %bb.0:
	s_load_dwordx8 s[12:19], s[4:5], 0x0
	s_load_dwordx2 s[0:1], s[4:5], 0x20
	s_mov_b32 s7, 0
	s_mov_b32 s26, s7
	s_waitcnt lgkmcnt(0)
	s_cmp_eq_u64 s[18:19], 0
	s_cselect_b64 s[2:3], -1, 0
	s_cmp_eq_u64 s[0:1], 0
	s_cselect_b64 s[8:9], -1, 0
	s_or_b64 s[2:3], s[2:3], s[8:9]
	s_and_b64 vcc, exec, s[2:3]
	s_mov_b32 s2, s16
	s_cbranch_vccnz .LBB3_2
; %bb.1:
	s_lshl_b64 s[2:3], s[6:7], 2
	s_add_u32 s0, s0, s2
	s_addc_u32 s1, s1, s3
	s_add_u32 s8, s18, s2
	s_addc_u32 s9, s19, s3
	s_load_dword s26, s[8:9], 0x0
	s_load_dword s2, s[0:1], 0x0
.LBB3_2:
	s_load_dword s33, s[4:5], 0x28
	s_waitcnt lgkmcnt(0)
	s_sub_i32 s55, s2, s26
	v_cmp_ne_u32_e64 s[0:1], 0, v0
	v_cmp_eq_u32_e64 s[2:3], 0, v0
	s_and_saveexec_b64 s[8:9], s[2:3]
	s_cbranch_execz .LBB3_4
; %bb.3:
	v_mov_b32_e32 v5, 0
	v_mov_b32_e32 v2, s33
	;; [unrolled: 1-line block ×4, first 2 shown]
	ds_write_b128 v5, v[2:5]
	ds_write2_b32 v5, v5, v5 offset0:96 offset1:128
.LBB3_4:
	s_or_b64 exec, exec, s[8:9]
	s_load_dwordx2 s[18:19], s[4:5], 0x38
	s_ashr_i32 s7, s33, 31
	s_mul_hi_u32 s8, s33, s6
	s_mul_i32 s7, s7, s6
	s_add_i32 s9, s8, s7
	s_mul_i32 s8, s33, s6
	s_lshl_b64 s[20:21], s[8:9], 2
	s_waitcnt lgkmcnt(0)
	s_add_u32 s52, s18, s20
	s_addc_u32 s53, s19, s21
	s_cmp_gt_i32 s55, s33
	s_mov_b64 s[8:9], -1
	s_barrier
	s_cbranch_scc1 .LBB3_14
; %bb.5:
	v_cmp_gt_i32_e32 vcc, s33, v0
	s_and_saveexec_b64 s[10:11], vcc
	s_cbranch_execz .LBB3_13
; %bb.6:
	v_xad_u32 v1, v0, -1, s33
	s_movk_i32 s7, 0x3ff
	v_cmp_lt_u32_e32 vcc, s7, v1
	v_mov_b32_e32 v2, v0
	s_and_saveexec_b64 s[22:23], vcc
	s_cbranch_execz .LBB3_10
; %bb.7:
	v_lshrrev_b32_e32 v1, 10, v1
	v_add_u32_e32 v6, 1, v1
	v_and_b32_e32 v7, 0x7ffffe, v6
	v_or_b32_e32 v1, 0x400, v0
	s_mov_b32 s7, s55
	s_mov_b32 s27, s26
	s_mov_b64 s[24:25], 0
	v_mov_b32_e32 v8, s53
	v_mov_b32_e32 v3, 0
	;; [unrolled: 1-line block ×3, first 2 shown]
	v_pk_mov_b32 v[4:5], v[0:1], v[0:1] op_sel:[0,1]
.LBB3_8:                                ; =>This Inner Loop Header: Depth=1
	v_add_u32_e32 v10, s27, v5
	v_mov_b32_e32 v2, v4
	v_cmp_gt_i32_e64 s[8:9], s7, v5
	v_add_u32_e32 v1, s26, v4
	v_cmp_gt_i32_e32 vcc, s55, v4
	v_add_u32_e32 v9, -2, v9
	v_cndmask_b32_e64 v14, -1, v10, s[8:9]
	v_lshlrev_b64 v[10:11], 2, v[2:3]
	v_mov_b32_e32 v2, v5
	v_cndmask_b32_e32 v1, -1, v1, vcc
	v_cmp_eq_u32_e32 vcc, 0, v9
	v_add_co_u32_e64 v10, s[8:9], s52, v10
	v_lshlrev_b64 v[12:13], 2, v[2:3]
	v_add_u32_e32 v4, 0x800, v4
	v_add_u32_e32 v5, 0x800, v5
	v_addc_co_u32_e64 v11, s[8:9], v8, v11, s[8:9]
	s_or_b64 s[24:25], vcc, s[24:25]
	v_add_co_u32_e32 v12, vcc, s52, v12
	v_addc_co_u32_e32 v13, vcc, v8, v13, vcc
	global_store_dword v[10:11], v1, off
	global_store_dword v[12:13], v14, off
	s_andn2_b64 exec, exec, s[24:25]
	s_cbranch_execnz .LBB3_8
; %bb.9:
	s_or_b64 exec, exec, s[24:25]
	v_cmp_ne_u32_e32 vcc, v6, v7
	v_lshl_or_b32 v2, v7, 10, v0
	s_orn2_b64 s[8:9], vcc, exec
.LBB3_10:
	s_or_b64 exec, exec, s[22:23]
	s_and_b64 exec, exec, s[8:9]
	s_cbranch_execz .LBB3_13
; %bb.11:
	v_mov_b32_e32 v3, 0
	s_add_u32 s7, s18, s20
	v_lshlrev_b64 v[4:5], 2, v[2:3]
	s_addc_u32 s8, s19, s21
	v_mov_b32_e32 v1, s8
	v_add_co_u32_e32 v4, vcc, s7, v4
	v_addc_co_u32_e32 v5, vcc, v1, v5, vcc
	s_mov_b64 s[18:19], 0
.LBB3_12:                               ; =>This Inner Loop Header: Depth=1
	v_add_u32_e32 v1, s26, v2
	v_cmp_gt_i32_e32 vcc, s55, v2
	v_add_u32_e32 v2, 0x400, v2
	v_cndmask_b32_e32 v1, -1, v1, vcc
	v_cmp_le_i32_e64 s[8:9], s33, v2
	global_store_dword v[4:5], v1, off
	v_add_co_u32_e32 v4, vcc, 0x1000, v4
	s_or_b64 s[18:19], s[8:9], s[18:19]
	v_addc_co_u32_e32 v5, vcc, 0, v5, vcc
	s_andn2_b64 exec, exec, s[18:19]
	s_cbranch_execnz .LBB3_12
.LBB3_13:
	s_or_b64 exec, exec, s[10:11]
	s_mov_b64 s[8:9], 0
.LBB3_14:
	s_andn2_b64 vcc, exec, s[8:9]
	s_cbranch_vccnz .LBB3_240
; %bb.15:
	s_mul_i32 s7, s6, s17
	s_mul_hi_u32 s8, s6, s16
	s_add_i32 s9, s8, s7
	s_mul_i32 s8, s6, s16
	s_lshl_b64 s[8:9], s[8:9], 2
	s_add_u32 s18, s12, s8
	s_addc_u32 s19, s13, s9
	s_add_u32 s7, s14, s8
	s_addc_u32 s8, s15, s9
	s_cmp_lg_u64 s[14:15], 0
	s_cselect_b32 s15, s8, 0
	s_load_dwordx2 s[8:9], s[4:5], 0x48
	s_load_dword s10, s[4:5], 0x64
	s_cselect_b32 s14, s7, 0
	s_lshr_b32 s7, s16, 5
	s_and_b32 s59, s7, 0x7ffffc0
	s_mul_hi_u32 s7, s6, s59
	s_mul_i32 s6, s6, s59
	s_lshl_b64 s[4:5], s[6:7], 4
	v_lshrrev_b32_e32 v1, 3, v0
	s_waitcnt lgkmcnt(0)
	s_add_u32 s22, s8, s4
	v_and_b32_e32 v1, 0x7c, v1
	v_lshlrev_b32_e32 v9, 2, v0
	s_movk_i32 s4, 0x4280
	v_add3_u32 v13, v9, v1, s4
	v_or_b32_e32 v1, 0x400, v0
	v_lshrrev_b32_e32 v1, 3, v1
	v_and_b32_e32 v1, 0xfc, v1
	v_add3_u32 v14, v1, v9, s4
	v_lshrrev_b32_e32 v1, 4, v0
	v_lshl_add_u32 v2, v0, 1, v1
	v_mov_b32_e32 v3, 0x4280
	s_addc_u32 s23, s9, s5
	s_and_b32 s54, s10, 0xffff
	v_lshl_add_u32 v15, v2, 2, v3
	v_mov_b32_e32 v2, 0x6380
	v_and_or_b32 v17, v1, 60, v2
	v_lshrrev_b32_e32 v1, 1, v0
	v_cvt_f32_u32_e32 v4, s54
	v_lshl_add_u32 v1, v0, 4, v1
	v_lshl_add_u32 v18, v1, 2, v3
	v_add_u32_e32 v1, -1, v0
	v_lshrrev_b32_e32 v2, 5, v1
	s_lshl_b32 s6, s59, 3
	v_add_u32_e32 v1, v2, v1
	v_rcp_iflag_f32_e32 v2, v4
	s_add_u32 s24, s22, s6
	s_addc_u32 s25, s23, 0
	s_lshl_b32 s6, s59, 2
	s_sub_u32 s26, s24, s6
	s_subb_u32 s27, s25, 0
	v_mul_f32_e32 v2, 0x4f7ffffe, v2
	s_add_u32 s28, s24, s6
	v_lshl_add_u32 v19, v1, 2, v3
	v_add_u32_e32 v1, s54, v0
	s_movk_i32 s6, 0x1000
	v_cvt_u32_f32_e32 v2, v2
	v_mov_b32_e32 v4, s54
	v_cmp_gt_u32_e32 vcc, s6, v1
	v_max_u32_e32 v3, 0x1000, v1
	v_addc_co_u32_e64 v1, s[6:7], v0, v4, vcc
	s_addc_u32 s29, s25, 0
	s_sub_i32 s6, 0, s54
	v_sub_u32_e32 v1, v3, v1
	v_mul_lo_u32 v3, s6, v2
	v_mul_hi_u32 v3, v2, v3
	v_add_u32_e32 v2, v2, v3
	v_mul_hi_u32 v2, v1, v2
	v_mul_lo_u32 v3, v2, s54
	v_sub_u32_e32 v1, v1, v3
	v_add_u32_e32 v3, 1, v2
	v_cmp_le_u32_e64 s[6:7], s54, v1
	v_cndmask_b32_e64 v2, v2, v3, s[6:7]
	v_subrev_u32_e32 v3, s54, v1
	v_cndmask_b32_e64 v1, v1, v3, s[6:7]
	v_add_u32_e32 v3, 1, v2
	v_cmp_le_u32_e64 s[6:7], s54, v1
	v_cndmask_b32_e64 v1, v2, v3, s[6:7]
	v_addc_co_u32_e64 v2, s[6:7], 1, v1, vcc
	v_cmp_lt_u32_e64 s[6:7], 1, v2
	v_cmp_eq_u16_e64 s[8:9], s10, 1
	v_and_b32_e32 v3, -2, v2
	s_and_b64 s[30:31], s[6:7], s[8:9]
	v_mad_u64_u32 v[6:7], s[6:7], v3, s54, v[0:1]
	v_addc_co_u32_e32 v1, vcc, -1, v1, vcc
	v_lshrrev_b32_e32 v4, 1, v1
	v_add_u32_e32 v4, 1, v4
	v_cmp_lt_u32_e64 s[6:7], 13, v1
	v_mbcnt_lo_u32_b32 v1, -1, 0
	v_and_b32_e32 v7, 7, v4
	v_mbcnt_hi_u32_b32 v26, -1, v1
	v_bfrev_b32_e32 v1, 0.5
	s_mov_b32 s21, 0
	v_cmp_gt_u32_e64 s[4:5], 64, v0
	v_mov_b32_e32 v16, 0
	v_and_b32_e32 v20, -8, v4
	v_cmp_ne_u32_e64 s[8:9], 0, v7
	v_cmp_ne_u32_e64 s[10:11], v2, v3
	v_add_u32_e32 v8, 0x280, v9
	s_lshl_b32 s60, s54, 6
	s_lshl_b32 s61, s54, 3
	;; [unrolled: 1-line block ×3, first 2 shown]
	v_add_u32_e32 v21, 0x27c, v9
	v_lshlrev_b32_e32 v22, 2, v6
	s_movk_i32 s63, 0xfff
	v_bfrev_b32_e32 v23, -2
	v_mov_b32_e32 v24, 1
	s_movk_i32 s64, 0x7ff
	v_lshlrev_b32_e32 v25, 2, v0
	s_movk_i32 s65, 0x800
	s_mov_b64 s[34:35], src_shared_base
	v_lshl_or_b32 v27, v26, 2, v1
	v_mov_b32_e32 v28, 0x7ffff800
	s_mov_b32 s66, 0
	s_branch .LBB3_17
.LBB3_16:                               ;   in Loop: Header=BB3_17 Depth=1
	s_andn2_b64 vcc, exec, s[36:37]
	s_cbranch_vccz .LBB3_154
.LBB3_17:                               ; =>This Loop Header: Depth=1
                                        ;     Child Loop BB3_25 Depth 2
                                        ;     Child Loop BB3_29 Depth 2
	;; [unrolled: 1-line block ×8, first 2 shown]
	s_mov_b64 s[38:39], 0
	s_cmp_lt_i32 s66, 1
	s_mov_b64 s[36:37], s[18:19]
	s_mov_b64 s[12:13], 0
	;; [unrolled: 1-line block ×3, first 2 shown]
	s_cbranch_scc1 .LBB3_22
; %bb.18:                               ;   in Loop: Header=BB3_17 Depth=1
	s_cmp_lg_u32 s66, 1
	s_mov_b64 s[36:37], -1
                                        ; implicit-def: $sgpr16_sgpr17
                                        ; implicit-def: $sgpr12_sgpr13
                                        ; implicit-def: $sgpr38_sgpr39
	s_cbranch_scc0 .LBB3_20
; %bb.19:                               ;   in Loop: Header=BB3_17 Depth=1
	s_mov_b64 s[36:37], 0
	s_mov_b64 s[16:17], s[28:29]
	;; [unrolled: 1-line block ×4, first 2 shown]
.LBB3_20:                               ;   in Loop: Header=BB3_17 Depth=1
	s_andn2_b64 vcc, exec, s[36:37]
	s_mov_b64 s[36:37], s[22:23]
	s_cbranch_vccnz .LBB3_22
; %bb.21:                               ;   in Loop: Header=BB3_17 Depth=1
	s_mov_b64 s[16:17], s[24:25]
	s_mov_b64 s[12:13], s[22:23]
	;; [unrolled: 1-line block ×4, first 2 shown]
.LBB3_22:                               ;   in Loop: Header=BB3_17 Depth=1
	ds_read_b96 v[2:4], v16
	s_mov_b64 s[42:43], -1
	v_mov_b32_e32 v1, v0
	s_waitcnt lgkmcnt(0)
	v_readfirstlane_b32 s67, v2
	v_readfirstlane_b32 s56, v3
	;; [unrolled: 1-line block ×3, first 2 shown]
	v_mov_b32_e32 v2, v9
	s_and_saveexec_b64 s[40:41], s[30:31]
	s_cbranch_execz .LBB3_33
; %bb.23:                               ;   in Loop: Header=BB3_17 Depth=1
	v_mov_b32_e32 v3, 0
	s_and_saveexec_b64 s[42:43], s[6:7]
	s_cbranch_execz .LBB3_27
; %bb.24:                               ;   in Loop: Header=BB3_17 Depth=1
	s_mov_b32 s34, 0
	s_mov_b64 s[44:45], 0
	v_mov_b32_e32 v1, v20
	v_mov_b32_e32 v2, v8
.LBB3_25:                               ;   Parent Loop BB3_17 Depth=1
                                        ; =>  This Inner Loop Header: Depth=2
	v_add_u32_e32 v3, s61, v2
	v_add_u32_e32 v4, s61, v3
	ds_write2_b32 v2, v16, v16 offset1:1
	ds_write2_b32 v3, v16, v16 offset1:1
	;; [unrolled: 1-line block ×3, first 2 shown]
	v_add_u32_e32 v4, s61, v4
	ds_write2_b32 v4, v16, v16 offset1:1
	v_add_u32_e32 v4, s61, v4
	v_add_u32_e32 v1, -8, v1
	ds_write2_b32 v4, v16, v16 offset1:1
	v_add_u32_e32 v4, s61, v4
	s_add_i32 s34, s34, 16
	v_cmp_eq_u32_e32 vcc, 0, v1
	ds_write2_b32 v4, v16, v16 offset1:1
	v_add_u32_e32 v4, s61, v4
	v_add_u32_e32 v2, s60, v2
	v_mov_b32_e32 v3, s34
	s_or_b64 s[44:45], vcc, s[44:45]
	ds_write2_b32 v4, v16, v16 offset1:1
	v_add_u32_e32 v4, s61, v4
	ds_write2_b32 v4, v16, v16 offset1:1
	s_andn2_b64 exec, exec, s[44:45]
	s_cbranch_execnz .LBB3_25
; %bb.26:                               ;   in Loop: Header=BB3_17 Depth=1
	s_or_b64 exec, exec, s[44:45]
.LBB3_27:                               ;   in Loop: Header=BB3_17 Depth=1
	s_or_b64 exec, exec, s[42:43]
	s_and_saveexec_b64 s[42:43], s[8:9]
	s_cbranch_execz .LBB3_30
; %bb.28:                               ;   in Loop: Header=BB3_17 Depth=1
	v_mad_u64_u32 v[2:3], s[44:45], s62, v3, v[8:9]
	s_mov_b64 s[44:45], 0
	v_mov_b32_e32 v1, v7
.LBB3_29:                               ;   Parent Loop BB3_17 Depth=1
                                        ; =>  This Inner Loop Header: Depth=2
	v_add_u32_e32 v1, -1, v1
	v_cmp_eq_u32_e32 vcc, 0, v1
	ds_write2_b32 v2, v16, v16 offset1:1
	s_or_b64 s[44:45], vcc, s[44:45]
	v_add_u32_e32 v2, s61, v2
	s_andn2_b64 exec, exec, s[44:45]
	s_cbranch_execnz .LBB3_29
.LBB3_30:                               ;   in Loop: Header=BB3_17 Depth=1
	s_or_b64 exec, exec, s[42:43]
	s_mov_b64 s[42:43], 0
	s_and_saveexec_b64 s[44:45], s[10:11]
	s_xor_b64 s[44:45], exec, s[44:45]
; %bb.31:                               ;   in Loop: Header=BB3_17 Depth=1
	s_mov_b64 s[42:43], exec
; %bb.32:                               ;   in Loop: Header=BB3_17 Depth=1
	s_or_b64 exec, exec, s[44:45]
	s_orn2_b64 s[42:43], s[42:43], exec
	v_mov_b32_e32 v1, v6
	v_mov_b32_e32 v2, v22
.LBB3_33:                               ;   in Loop: Header=BB3_17 Depth=1
	s_or_b64 exec, exec, s[40:41]
	s_and_saveexec_b64 s[40:41], s[42:43]
	s_cbranch_execz .LBB3_36
; %bb.34:                               ;   in Loop: Header=BB3_17 Depth=1
	v_add_u32_e32 v2, 0x280, v2
	s_mov_b64 s[42:43], 0
.LBB3_35:                               ;   Parent Loop BB3_17 Depth=1
                                        ; =>  This Inner Loop Header: Depth=2
	v_add_u32_e32 v1, s54, v1
	v_cmp_lt_u32_e32 vcc, s63, v1
	ds_write_b32 v2, v16
	s_or_b64 s[42:43], vcc, s[42:43]
	v_add_u32_e32 v2, s62, v2
	s_andn2_b64 exec, exec, s[42:43]
	s_cbranch_execnz .LBB3_35
.LBB3_36:                               ;   in Loop: Header=BB3_17 Depth=1
	s_or_b64 exec, exec, s[40:41]
	s_and_saveexec_b64 s[40:41], s[2:3]
	s_cbranch_execz .LBB3_38
; %bb.37:                               ;   in Loop: Header=BB3_17 Depth=1
	ds_write_b32 v16, v16 offset:128
.LBB3_38:                               ;   in Loop: Header=BB3_17 Depth=1
	s_or_b64 exec, exec, s[40:41]
	s_cmp_gt_i32 s20, s59
	s_cselect_b64 s[40:41], -1, 0
	s_and_b64 s[42:43], s[40:41], exec
	s_cselect_b32 s36, s18, s36
	s_cselect_b32 s37, s19, s37
	;; [unrolled: 1-line block ×3, first 2 shown]
	s_cmp_gt_i32 s56, s59
	s_mul_i32 s20, s66, -11
	s_cselect_b32 s58, 0, s17
	s_cselect_b32 s57, 0, s16
	;; [unrolled: 1-line block ×4, first 2 shown]
	s_max_i32 s34, s20, 0xffffffeb
	s_add_i32 s34, s34, 21
	s_add_i32 s20, s20, 32
	s_sub_i32 s12, s20, s34
	s_lshl_b32 s12, -1, s12
	s_not_b32 s68, s12
	s_cmp_lg_u32 s66, 0
	s_waitcnt lgkmcnt(0)
	s_barrier
	s_cbranch_scc0 .LBB3_54
; %bb.39:                               ;   in Loop: Header=BB3_17 Depth=1
	ds_read_b32 v1, v16 offset:12
	s_cmp_lg_u64 s[16:17], 0
	v_cmp_gt_i32_e64 s[12:13], s69, v0
	s_cbranch_scc0 .LBB3_56
; %bb.40:                               ;   in Loop: Header=BB3_17 Depth=1
	s_and_b64 s[40:41], s[40:41], exec
	s_cselect_b32 s39, s15, s39
	s_cselect_b32 s38, s14, s38
	s_cmp_eq_u64 s[38:39], 0
	s_cbranch_scc1 .LBB3_57
; %bb.41:                               ;   in Loop: Header=BB3_17 Depth=1
	s_and_saveexec_b64 s[40:41], s[12:13]
	s_cbranch_execz .LBB3_55
; %bb.42:                               ;   in Loop: Header=BB3_17 Depth=1
	s_lshl_b32 s70, -1, s20
	s_mov_b64 s[42:43], 0
	v_mov_b32_e32 v10, s37
	v_mov_b32_e32 v2, v0
	s_branch .LBB3_45
.LBB3_43:                               ;   in Loop: Header=BB3_45 Depth=2
	s_or_b64 exec, exec, s[46:47]
	v_mov_b32_e32 v30, s39
	v_add_co_u32_e32 v4, vcc, s38, v4
	v_addc_co_u32_e32 v5, vcc, v30, v5, vcc
	flat_load_dword v32, v[4:5]
	s_waitcnt lgkmcnt(0)
	v_readfirstlane_b32 s46, v29
	v_lshrrev_b32_e32 v5, s34, v11
	v_add_u32_e32 v4, s46, v12
	v_and_b32_e32 v11, s68, v5
	v_ashrrev_i32_e32 v5, 31, v4
	v_lshlrev_b64 v[4:5], 2, v[4:5]
	v_mov_b32_e32 v29, s17
	v_add_co_u32_e32 v30, vcc, s16, v4
	v_addc_co_u32_e32 v31, vcc, v29, v5, vcc
	v_mov_b32_e32 v33, s58
	v_add_co_u32_e32 v4, vcc, s57, v4
	v_addc_co_u32_e32 v5, vcc, v33, v5, vcc
	flat_store_dword v[30:31], v3
	s_waitcnt vmcnt(0)
	flat_store_dword v[4:5], v32
	v_lshlrev_b32_e32 v3, 2, v11
	ds_add_u32 v3, v24 offset:640
.LBB3_44:                               ;   in Loop: Header=BB3_45 Depth=2
	s_or_b64 exec, exec, s[44:45]
	v_add_u32_e32 v2, s54, v2
	v_cmp_le_i32_e32 vcc, s69, v2
	s_or_b64 s[42:43], vcc, s[42:43]
	s_andn2_b64 exec, exec, s[42:43]
	s_cbranch_execz .LBB3_55
.LBB3_45:                               ;   Parent Loop BB3_17 Depth=1
                                        ; =>  This Inner Loop Header: Depth=2
	v_ashrrev_i32_e32 v3, 31, v2
	v_lshlrev_b64 v[4:5], 2, v[2:3]
	v_add_co_u32_e32 v30, vcc, s36, v4
	v_addc_co_u32_e32 v31, vcc, v10, v5, vcc
	global_load_dword v3, v[30:31], off
	s_waitcnt vmcnt(0)
	v_cmp_gt_f32_e32 vcc, 0, v3
	v_cndmask_b32_e64 v11, v23, 0, vcc
	v_xor_b32_e32 v11, v11, v3
	v_and_b32_e32 v12, s70, v11
	s_waitcnt lgkmcnt(0)
	v_cmp_ne_u32_e32 vcc, v12, v1
	s_and_saveexec_b64 s[44:45], vcc
	s_xor_b64 s[44:45], exec, s[44:45]
	s_cbranch_execz .LBB3_51
; %bb.46:                               ;   in Loop: Header=BB3_45 Depth=2
	v_cmp_lt_u32_e32 vcc, v12, v1
	s_and_saveexec_b64 s[46:47], vcc
	s_cbranch_execz .LBB3_50
; %bb.47:                               ;   in Loop: Header=BB3_45 Depth=2
	s_mov_b64 s[50:51], exec
	v_mbcnt_lo_u32_b32 v3, s50, 0
	v_mbcnt_hi_u32_b32 v3, s51, v3
	v_cmp_eq_u32_e32 vcc, 0, v3
                                        ; implicit-def: $vgpr11
	s_and_saveexec_b64 s[48:49], vcc
	s_cbranch_execz .LBB3_49
; %bb.48:                               ;   in Loop: Header=BB3_45 Depth=2
	s_bcnt1_i32_b64 s50, s[50:51]
	v_mov_b32_e32 v11, s50
	ds_add_rtn_u32 v11, v16, v11 offset:384
.LBB3_49:                               ;   in Loop: Header=BB3_45 Depth=2
	s_or_b64 exec, exec, s[48:49]
	v_mov_b32_e32 v12, s39
	v_add_co_u32_e32 v4, vcc, s38, v4
	v_addc_co_u32_e32 v5, vcc, v12, v5, vcc
	flat_load_dword v12, v[4:5]
	s_waitcnt lgkmcnt(0)
	v_readfirstlane_b32 s48, v11
	v_add_u32_e32 v4, s48, v3
	v_ashrrev_i32_e32 v5, 31, v4
	v_lshlrev_b64 v[4:5], 2, v[4:5]
	v_mov_b32_e32 v3, s53
	v_add_co_u32_e32 v4, vcc, s52, v4
	v_addc_co_u32_e32 v5, vcc, v3, v5, vcc
	s_waitcnt vmcnt(0)
	global_store_dword v[4:5], v12, off
.LBB3_50:                               ;   in Loop: Header=BB3_45 Depth=2
	s_or_b64 exec, exec, s[46:47]
                                        ; implicit-def: $vgpr3
                                        ; implicit-def: $vgpr4_vgpr5
                                        ; implicit-def: $vgpr11
.LBB3_51:                               ;   in Loop: Header=BB3_45 Depth=2
	s_andn2_saveexec_b64 s[44:45], s[44:45]
	s_cbranch_execz .LBB3_44
; %bb.52:                               ;   in Loop: Header=BB3_45 Depth=2
	s_mov_b64 s[48:49], exec
	v_mbcnt_lo_u32_b32 v12, s48, 0
	v_mbcnt_hi_u32_b32 v12, s49, v12
	v_cmp_eq_u32_e32 vcc, 0, v12
                                        ; implicit-def: $vgpr29
	s_and_saveexec_b64 s[46:47], vcc
	s_cbranch_execz .LBB3_43
; %bb.53:                               ;   in Loop: Header=BB3_45 Depth=2
	s_bcnt1_i32_b64 s48, s[48:49]
	v_mov_b32_e32 v29, s48
	ds_add_rtn_u32 v29, v16, v29 offset:128
	s_branch .LBB3_43
.LBB3_54:                               ;   in Loop: Header=BB3_17 Depth=1
                                        ; implicit-def: $sgpr38_sgpr39
	s_branch .LBB3_80
.LBB3_55:                               ;   in Loop: Header=BB3_17 Depth=1
	s_or_b64 exec, exec, s[40:41]
	s_mov_b64 s[38:39], 0
	s_cbranch_execz .LBB3_58
	s_branch .LBB3_72
.LBB3_56:                               ;   in Loop: Header=BB3_17 Depth=1
                                        ; implicit-def: $sgpr38_sgpr39
	s_branch .LBB3_73
.LBB3_57:                               ;   in Loop: Header=BB3_17 Depth=1
	s_mov_b64 s[38:39], -1
.LBB3_58:                               ;   in Loop: Header=BB3_17 Depth=1
	s_and_saveexec_b64 s[38:39], s[12:13]
	s_cbranch_execz .LBB3_71
; %bb.59:                               ;   in Loop: Header=BB3_17 Depth=1
	s_lshl_b32 s48, -1, s20
	s_mov_b64 s[12:13], 0
	v_mov_b32_e32 v2, v0
	s_branch .LBB3_62
.LBB3_60:                               ;   in Loop: Header=BB3_62 Depth=2
	s_or_b64 exec, exec, s[42:43]
	s_waitcnt lgkmcnt(0)
	v_readfirstlane_b32 s42, v10
	v_add_u32_e32 v10, s42, v5
	v_ashrrev_i32_e32 v11, 31, v10
	v_lshlrev_b64 v[10:11], 2, v[10:11]
	v_mov_b32_e32 v5, s17
	v_add_co_u32_e32 v30, vcc, s16, v10
	v_addc_co_u32_e32 v31, vcc, v5, v11, vcc
	flat_store_dword v[30:31], v4
	v_mov_b32_e32 v5, s58
	v_add_co_u32_e32 v4, vcc, s57, v10
	v_lshrrev_b32_e32 v3, s34, v3
	v_addc_co_u32_e32 v5, vcc, v5, v11, vcc
	v_and_b32_e32 v3, s68, v3
	flat_store_dword v[4:5], v2
	v_lshlrev_b32_e32 v3, 2, v3
	ds_add_u32 v3, v24 offset:640
.LBB3_61:                               ;   in Loop: Header=BB3_62 Depth=2
	s_or_b64 exec, exec, s[40:41]
	v_add_u32_e32 v2, s54, v2
	v_cmp_le_i32_e32 vcc, s69, v2
	s_or_b64 s[12:13], vcc, s[12:13]
	s_andn2_b64 exec, exec, s[12:13]
	s_cbranch_execz .LBB3_71
.LBB3_62:                               ;   Parent Loop BB3_17 Depth=1
                                        ; =>  This Inner Loop Header: Depth=2
	v_ashrrev_i32_e32 v3, 31, v2
	v_lshlrev_b64 v[4:5], 2, v[2:3]
	v_mov_b32_e32 v3, s37
	v_add_co_u32_e32 v4, vcc, s36, v4
	v_addc_co_u32_e32 v5, vcc, v3, v5, vcc
	global_load_dword v4, v[4:5], off
	s_waitcnt vmcnt(0)
	v_cmp_gt_f32_e32 vcc, 0, v4
	v_cndmask_b32_e64 v3, v23, 0, vcc
	v_xor_b32_e32 v3, v3, v4
	v_and_b32_e32 v5, s48, v3
	s_waitcnt lgkmcnt(0)
	v_cmp_ne_u32_e32 vcc, v5, v1
	s_and_saveexec_b64 s[40:41], vcc
	s_xor_b64 s[40:41], exec, s[40:41]
	s_cbranch_execz .LBB3_68
; %bb.63:                               ;   in Loop: Header=BB3_62 Depth=2
	v_cmp_lt_u32_e32 vcc, v5, v1
	s_and_saveexec_b64 s[42:43], vcc
	s_cbranch_execz .LBB3_67
; %bb.64:                               ;   in Loop: Header=BB3_62 Depth=2
	s_mov_b64 s[46:47], exec
	v_mbcnt_lo_u32_b32 v3, s46, 0
	v_mbcnt_hi_u32_b32 v3, s47, v3
	v_cmp_eq_u32_e32 vcc, 0, v3
                                        ; implicit-def: $vgpr4
	s_and_saveexec_b64 s[44:45], vcc
	s_cbranch_execz .LBB3_66
; %bb.65:                               ;   in Loop: Header=BB3_62 Depth=2
	s_bcnt1_i32_b64 s46, s[46:47]
	v_mov_b32_e32 v4, s46
	ds_add_rtn_u32 v4, v16, v4 offset:384
.LBB3_66:                               ;   in Loop: Header=BB3_62 Depth=2
	s_or_b64 exec, exec, s[44:45]
	s_waitcnt lgkmcnt(0)
	v_readfirstlane_b32 s44, v4
	v_add_u32_e32 v4, s44, v3
	v_ashrrev_i32_e32 v5, 31, v4
	v_lshlrev_b64 v[4:5], 2, v[4:5]
	v_mov_b32_e32 v3, s53
	v_add_co_u32_e32 v4, vcc, s52, v4
	v_addc_co_u32_e32 v5, vcc, v3, v5, vcc
	global_store_dword v[4:5], v2, off
.LBB3_67:                               ;   in Loop: Header=BB3_62 Depth=2
	s_or_b64 exec, exec, s[42:43]
                                        ; implicit-def: $vgpr4
                                        ; implicit-def: $vgpr3
.LBB3_68:                               ;   in Loop: Header=BB3_62 Depth=2
	s_andn2_saveexec_b64 s[40:41], s[40:41]
	s_cbranch_execz .LBB3_61
; %bb.69:                               ;   in Loop: Header=BB3_62 Depth=2
	s_mov_b64 s[44:45], exec
	v_mbcnt_lo_u32_b32 v5, s44, 0
	v_mbcnt_hi_u32_b32 v5, s45, v5
	v_cmp_eq_u32_e32 vcc, 0, v5
                                        ; implicit-def: $vgpr10
	s_and_saveexec_b64 s[42:43], vcc
	s_cbranch_execz .LBB3_60
; %bb.70:                               ;   in Loop: Header=BB3_62 Depth=2
	s_bcnt1_i32_b64 s44, s[44:45]
	v_mov_b32_e32 v10, s44
	ds_add_rtn_u32 v10, v16, v10 offset:128
	s_branch .LBB3_60
.LBB3_71:                               ;   in Loop: Header=BB3_17 Depth=1
	s_or_b64 exec, exec, s[38:39]
	s_mov_b64 s[38:39], 0
.LBB3_72:                               ;   in Loop: Header=BB3_17 Depth=1
	s_cbranch_execnz .LBB3_79
.LBB3_73:                               ;   in Loop: Header=BB3_17 Depth=1
	v_cmp_gt_i32_e32 vcc, s69, v0
	s_and_saveexec_b64 s[12:13], vcc
	s_cbranch_execz .LBB3_78
; %bb.74:                               ;   in Loop: Header=BB3_17 Depth=1
	s_lshl_b32 s20, -1, s20
	s_mov_b64 s[38:39], 0
	v_mov_b32_e32 v2, v0
	s_branch .LBB3_76
.LBB3_75:                               ;   in Loop: Header=BB3_76 Depth=2
	s_or_b64 exec, exec, s[40:41]
	v_add_u32_e32 v2, s54, v2
	v_cmp_le_i32_e32 vcc, s69, v2
	s_or_b64 s[38:39], vcc, s[38:39]
	s_andn2_b64 exec, exec, s[38:39]
	s_cbranch_execz .LBB3_78
.LBB3_76:                               ;   Parent Loop BB3_17 Depth=1
                                        ; =>  This Inner Loop Header: Depth=2
	v_ashrrev_i32_e32 v3, 31, v2
	v_lshlrev_b64 v[4:5], 2, v[2:3]
	v_mov_b32_e32 v3, s37
	v_add_co_u32_e32 v4, vcc, s36, v4
	v_addc_co_u32_e32 v5, vcc, v3, v5, vcc
	global_load_dword v3, v[4:5], off
	s_waitcnt vmcnt(0)
	v_cmp_gt_f32_e32 vcc, 0, v3
	v_cndmask_b32_e64 v4, v23, 0, vcc
	v_xor_b32_e32 v3, v4, v3
	v_and_b32_e32 v4, s20, v3
	s_waitcnt lgkmcnt(0)
	v_cmp_eq_u32_e32 vcc, v4, v1
	s_and_saveexec_b64 s[40:41], vcc
	s_cbranch_execz .LBB3_75
; %bb.77:                               ;   in Loop: Header=BB3_76 Depth=2
	v_lshrrev_b32_e32 v3, s34, v3
	v_and_b32_e32 v3, s68, v3
	v_lshlrev_b32_e32 v3, 2, v3
	ds_add_u32 v3, v24 offset:640
	s_branch .LBB3_75
.LBB3_78:                               ;   in Loop: Header=BB3_17 Depth=1
	s_or_b64 exec, exec, s[12:13]
	s_mov_b64 s[38:39], 0
.LBB3_79:                               ;   in Loop: Header=BB3_17 Depth=1
	s_cbranch_execnz .LBB3_138
.LBB3_80:                               ;   in Loop: Header=BB3_17 Depth=1
	s_and_b32 s20, s36, 15
	s_sub_i32 s12, 16, s20
	s_lshr_b32 s12, s12, 2
	s_cmp_lg_u64 s[20:21], 0
	s_cselect_b32 s12, s12, 0
	s_min_i32 s12, s12, s69
	s_sub_i32 s13, s69, s12
	s_ashr_i32 s20, s13, 31
	s_lshr_b32 s20, s20, 30
	s_add_i32 s13, s13, s20
	s_ashr_i32 s20, s13, 2
	v_cmp_gt_i32_e32 vcc, s20, v0
	v_mov_b32_e32 v29, -1
	v_mov_b32_e32 v30, 0
	v_mov_b32_e32 v12, 0x7f7fffff
	s_waitcnt lgkmcnt(0)
	v_mov_b32_e32 v1, 0xff7fffff
                                        ; implicit-def: $vgpr5
	s_and_saveexec_b64 s[38:39], vcc
	s_cbranch_execz .LBB3_108
; %bb.81:                               ;   in Loop: Header=BB3_17 Depth=1
	s_ashr_i32 s13, s12, 31
	s_lshl_b64 s[40:41], s[12:13], 2
	s_add_u32 s13, s36, s40
	s_addc_u32 s46, s37, s41
	s_mov_b64 s[40:41], 0
	v_mov_b32_e32 v1, 0xff7fffff
	v_mov_b32_e32 v12, 0x7f7fffff
	v_mov_b32_e32 v29, -1
	v_mov_b32_e32 v30, 0
	v_mov_b32_e32 v10, v0
	s_branch .LBB3_83
.LBB3_82:                               ;   in Loop: Header=BB3_83 Depth=2
	s_or_b64 exec, exec, s[42:43]
	v_min3_f32 v11, v12, v2, v3
	v_max3_f32 v1, v1, v2, v3
	v_and_b32_e32 v2, 0x7ff, v32
	v_lshlrev_b32_e32 v2, 2, v2
	ds_add_u32 v2, v24 offset:8832
	v_add_u32_e32 v10, s54, v10
	v_cmp_le_i32_e32 vcc, s20, v10
	v_min3_f32 v12, v11, v4, v5
	s_or_b64 s[40:41], vcc, s[40:41]
	v_max3_f32 v1, v1, v4, v5
	s_andn2_b64 exec, exec, s[40:41]
	s_cbranch_execz .LBB3_107
.LBB3_83:                               ;   Parent Loop BB3_17 Depth=1
                                        ; =>  This Inner Loop Header: Depth=2
	v_ashrrev_i32_e32 v11, 31, v10
	v_lshlrev_b64 v[2:3], 4, v[10:11]
	v_mov_b32_e32 v4, s46
	v_add_co_u32_e32 v2, vcc, s13, v2
	v_addc_co_u32_e32 v3, vcc, v4, v3, vcc
	global_load_dwordx4 v[2:5], v[2:3], off
                                        ; implicit-def: $sgpr44
	s_waitcnt vmcnt(0)
	v_cmp_gt_f32_e32 vcc, 0, v2
	v_cndmask_b32_e64 v11, v23, 0, vcc
	v_xor_b32_e32 v32, v11, v2
	v_lshrrev_b32_e32 v11, s34, v32
	v_and_b32_e32 v11, s68, v11
	v_cmp_ne_u32_e32 vcc, v11, v29
	s_and_saveexec_b64 s[42:43], vcc
	s_xor_b64 s[42:43], exec, s[42:43]
	s_cbranch_execz .LBB3_87
; %bb.84:                               ;   in Loop: Header=BB3_83 Depth=2
	v_cmp_lt_i32_e32 vcc, 0, v30
	s_and_saveexec_b64 s[44:45], vcc
	s_cbranch_execz .LBB3_86
; %bb.85:                               ;   in Loop: Header=BB3_83 Depth=2
	v_lshlrev_b32_e32 v29, 2, v29
	ds_add_u32 v29, v30 offset:640
.LBB3_86:                               ;   in Loop: Header=BB3_83 Depth=2
	s_or_b64 exec, exec, s[44:45]
	s_mov_b32 s44, 1
                                        ; implicit-def: $vgpr30
                                        ; implicit-def: $vgpr29
.LBB3_87:                               ;   in Loop: Header=BB3_83 Depth=2
	s_or_saveexec_b64 s[42:43], s[42:43]
	v_mov_b32_e32 v31, s44
	s_xor_b64 exec, exec, s[42:43]
; %bb.88:                               ;   in Loop: Header=BB3_83 Depth=2
	v_add_u32_e32 v31, 1, v30
	v_mov_b32_e32 v11, v29
; %bb.89:                               ;   in Loop: Header=BB3_83 Depth=2
	s_or_b64 exec, exec, s[42:43]
	v_and_b32_e32 v29, 0x7ff, v32
	v_lshlrev_b32_e32 v29, 2, v29
	v_cmp_gt_f32_e32 vcc, 0, v3
	ds_add_u32 v29, v24 offset:8832
	v_cndmask_b32_e64 v29, v23, 0, vcc
	v_xor_b32_e32 v32, v29, v3
	v_lshrrev_b32_e32 v29, s34, v32
	v_and_b32_e32 v29, s68, v29
	v_cmp_ne_u32_e32 vcc, v29, v11
                                        ; implicit-def: $sgpr44
	s_and_saveexec_b64 s[42:43], vcc
	s_xor_b64 s[42:43], exec, s[42:43]
	s_cbranch_execz .LBB3_93
; %bb.90:                               ;   in Loop: Header=BB3_83 Depth=2
	v_cmp_lt_i32_e32 vcc, 0, v31
	s_and_saveexec_b64 s[44:45], vcc
	s_cbranch_execz .LBB3_92
; %bb.91:                               ;   in Loop: Header=BB3_83 Depth=2
	v_lshlrev_b32_e32 v11, 2, v11
	ds_add_u32 v11, v31 offset:640
.LBB3_92:                               ;   in Loop: Header=BB3_83 Depth=2
	s_or_b64 exec, exec, s[44:45]
	s_mov_b32 s44, 1
                                        ; implicit-def: $vgpr31
                                        ; implicit-def: $vgpr11
.LBB3_93:                               ;   in Loop: Header=BB3_83 Depth=2
	s_or_saveexec_b64 s[42:43], s[42:43]
	v_mov_b32_e32 v30, s44
	s_xor_b64 exec, exec, s[42:43]
; %bb.94:                               ;   in Loop: Header=BB3_83 Depth=2
	v_add_u32_e32 v30, 1, v31
	v_mov_b32_e32 v29, v11
; %bb.95:                               ;   in Loop: Header=BB3_83 Depth=2
	s_or_b64 exec, exec, s[42:43]
	v_and_b32_e32 v11, 0x7ff, v32
	v_lshlrev_b32_e32 v11, 2, v11
	v_cmp_gt_f32_e32 vcc, 0, v4
	ds_add_u32 v11, v24 offset:8832
	v_cndmask_b32_e64 v11, v23, 0, vcc
	v_xor_b32_e32 v32, v11, v4
	v_lshrrev_b32_e32 v11, s34, v32
	v_and_b32_e32 v11, s68, v11
	v_cmp_ne_u32_e32 vcc, v11, v29
                                        ; implicit-def: $sgpr44
	s_and_saveexec_b64 s[42:43], vcc
	s_xor_b64 s[42:43], exec, s[42:43]
	s_cbranch_execz .LBB3_99
; %bb.96:                               ;   in Loop: Header=BB3_83 Depth=2
	v_cmp_lt_i32_e32 vcc, 0, v30
	s_and_saveexec_b64 s[44:45], vcc
	s_cbranch_execz .LBB3_98
; %bb.97:                               ;   in Loop: Header=BB3_83 Depth=2
	v_lshlrev_b32_e32 v29, 2, v29
	ds_add_u32 v29, v30 offset:640
.LBB3_98:                               ;   in Loop: Header=BB3_83 Depth=2
	s_or_b64 exec, exec, s[44:45]
	s_mov_b32 s44, 1
                                        ; implicit-def: $vgpr30
                                        ; implicit-def: $vgpr29
.LBB3_99:                               ;   in Loop: Header=BB3_83 Depth=2
	s_or_saveexec_b64 s[42:43], s[42:43]
	v_mov_b32_e32 v31, s44
	s_xor_b64 exec, exec, s[42:43]
; %bb.100:                              ;   in Loop: Header=BB3_83 Depth=2
	v_add_u32_e32 v31, 1, v30
	v_mov_b32_e32 v11, v29
; %bb.101:                              ;   in Loop: Header=BB3_83 Depth=2
	s_or_b64 exec, exec, s[42:43]
	v_and_b32_e32 v29, 0x7ff, v32
	v_lshlrev_b32_e32 v29, 2, v29
	v_cmp_gt_f32_e32 vcc, 0, v5
	ds_add_u32 v29, v24 offset:8832
	v_cndmask_b32_e64 v29, v23, 0, vcc
	v_xor_b32_e32 v32, v29, v5
	v_lshrrev_b32_e32 v29, s34, v32
	v_and_b32_e32 v29, s68, v29
	v_cmp_ne_u32_e32 vcc, v29, v11
                                        ; implicit-def: $sgpr44
	s_and_saveexec_b64 s[42:43], vcc
	s_xor_b64 s[42:43], exec, s[42:43]
	s_cbranch_execz .LBB3_105
; %bb.102:                              ;   in Loop: Header=BB3_83 Depth=2
	v_cmp_lt_i32_e32 vcc, 0, v31
	s_and_saveexec_b64 s[44:45], vcc
	s_cbranch_execz .LBB3_104
; %bb.103:                              ;   in Loop: Header=BB3_83 Depth=2
	v_lshlrev_b32_e32 v11, 2, v11
	ds_add_u32 v11, v31 offset:640
.LBB3_104:                              ;   in Loop: Header=BB3_83 Depth=2
	s_or_b64 exec, exec, s[44:45]
	s_mov_b32 s44, 1
                                        ; implicit-def: $vgpr31
                                        ; implicit-def: $vgpr11
.LBB3_105:                              ;   in Loop: Header=BB3_83 Depth=2
	s_or_saveexec_b64 s[42:43], s[42:43]
	v_mov_b32_e32 v30, s44
	s_xor_b64 exec, exec, s[42:43]
	s_cbranch_execz .LBB3_82
; %bb.106:                              ;   in Loop: Header=BB3_83 Depth=2
	v_add_u32_e32 v30, 1, v31
	v_mov_b32_e32 v29, v11
	s_branch .LBB3_82
.LBB3_107:                              ;   in Loop: Header=BB3_17 Depth=1
	s_or_b64 exec, exec, s[40:41]
.LBB3_108:                              ;   in Loop: Header=BB3_17 Depth=1
	s_or_b64 exec, exec, s[38:39]
	v_cmp_gt_u32_e32 vcc, s12, v0
	s_and_saveexec_b64 s[38:39], vcc
	s_cbranch_execz .LBB3_116
; %bb.109:                              ;   in Loop: Header=BB3_17 Depth=1
	global_load_dword v5, v25, s[36:37]
                                        ; implicit-def: $sgpr13
	s_waitcnt vmcnt(0)
	v_cmp_gt_f32_e32 vcc, 0, v5
	v_cndmask_b32_e64 v2, v23, 0, vcc
	v_xor_b32_e32 v3, v2, v5
	v_lshrrev_b32_e32 v2, s34, v3
	v_and_b32_e32 v2, s68, v2
	v_cmp_ne_u32_e32 vcc, v2, v29
	s_and_saveexec_b64 s[40:41], vcc
	s_xor_b64 s[40:41], exec, s[40:41]
	s_cbranch_execz .LBB3_113
; %bb.110:                              ;   in Loop: Header=BB3_17 Depth=1
	v_cmp_lt_i32_e32 vcc, 0, v30
	s_and_saveexec_b64 s[42:43], vcc
	s_cbranch_execz .LBB3_112
; %bb.111:                              ;   in Loop: Header=BB3_17 Depth=1
	v_lshlrev_b32_e32 v4, 2, v29
	ds_add_u32 v4, v30 offset:640
.LBB3_112:                              ;   in Loop: Header=BB3_17 Depth=1
	s_or_b64 exec, exec, s[42:43]
	s_mov_b32 s13, 1
                                        ; implicit-def: $vgpr30
                                        ; implicit-def: $vgpr29
.LBB3_113:                              ;   in Loop: Header=BB3_17 Depth=1
	s_or_saveexec_b64 s[40:41], s[40:41]
	v_mov_b32_e32 v4, s13
	s_xor_b64 exec, exec, s[40:41]
; %bb.114:                              ;   in Loop: Header=BB3_17 Depth=1
	v_add_u32_e32 v4, 1, v30
	v_mov_b32_e32 v2, v29
; %bb.115:                              ;   in Loop: Header=BB3_17 Depth=1
	s_or_b64 exec, exec, s[40:41]
	v_and_b32_e32 v3, 0x7ff, v3
	v_lshlrev_b32_e32 v3, 2, v3
	ds_add_u32 v3, v24 offset:8832
	v_max_f32_e32 v3, v12, v12
	v_max_f32_e32 v10, v5, v5
	;; [unrolled: 1-line block ×3, first 2 shown]
	v_min_f32_e32 v12, v3, v10
	v_max_f32_e32 v1, v1, v10
	v_mov_b32_e32 v29, v2
	v_mov_b32_e32 v30, v4
.LBB3_116:                              ;   in Loop: Header=BB3_17 Depth=1
	s_or_b64 exec, exec, s[38:39]
	s_lshl_b32 s13, s20, 2
	s_add_i32 s13, s13, s12
	v_add_u32_e32 v2, s13, v0
	v_cmp_gt_i32_e32 vcc, s69, v2
	s_and_saveexec_b64 s[12:13], vcc
	s_cbranch_execz .LBB3_124
; %bb.117:                              ;   in Loop: Header=BB3_17 Depth=1
	v_ashrrev_i32_e32 v3, 31, v2
	v_lshlrev_b64 v[2:3], 2, v[2:3]
	v_mov_b32_e32 v4, s37
	v_add_co_u32_e32 v2, vcc, s36, v2
	v_addc_co_u32_e32 v3, vcc, v4, v3, vcc
	global_load_dword v5, v[2:3], off
                                        ; implicit-def: $sgpr20
	s_waitcnt vmcnt(0)
	v_cmp_gt_f32_e32 vcc, 0, v5
	v_cndmask_b32_e64 v2, v23, 0, vcc
	v_xor_b32_e32 v3, v2, v5
	v_lshrrev_b32_e32 v2, s34, v3
	v_and_b32_e32 v2, s68, v2
	v_cmp_ne_u32_e32 vcc, v2, v29
	s_and_saveexec_b64 s[36:37], vcc
	s_xor_b64 s[36:37], exec, s[36:37]
	s_cbranch_execz .LBB3_121
; %bb.118:                              ;   in Loop: Header=BB3_17 Depth=1
	v_cmp_lt_i32_e32 vcc, 0, v30
	s_and_saveexec_b64 s[38:39], vcc
	s_cbranch_execz .LBB3_120
; %bb.119:                              ;   in Loop: Header=BB3_17 Depth=1
	v_lshlrev_b32_e32 v4, 2, v29
	ds_add_u32 v4, v30 offset:640
.LBB3_120:                              ;   in Loop: Header=BB3_17 Depth=1
	s_or_b64 exec, exec, s[38:39]
	s_mov_b32 s20, 1
                                        ; implicit-def: $vgpr30
                                        ; implicit-def: $vgpr29
.LBB3_121:                              ;   in Loop: Header=BB3_17 Depth=1
	s_or_saveexec_b64 s[36:37], s[36:37]
	v_mov_b32_e32 v4, s20
	s_xor_b64 exec, exec, s[36:37]
; %bb.122:                              ;   in Loop: Header=BB3_17 Depth=1
	v_add_u32_e32 v4, 1, v30
	v_mov_b32_e32 v2, v29
; %bb.123:                              ;   in Loop: Header=BB3_17 Depth=1
	s_or_b64 exec, exec, s[36:37]
	v_and_b32_e32 v3, 0x7ff, v3
	v_lshlrev_b32_e32 v3, 2, v3
	ds_add_u32 v3, v24 offset:8832
	v_max_f32_e32 v3, v12, v12
	v_max_f32_e32 v10, v5, v5
	;; [unrolled: 1-line block ×3, first 2 shown]
	v_min_f32_e32 v12, v3, v10
	v_max_f32_e32 v1, v1, v10
	v_mov_b32_e32 v29, v2
	v_mov_b32_e32 v30, v4
.LBB3_124:                              ;   in Loop: Header=BB3_17 Depth=1
	s_or_b64 exec, exec, s[12:13]
	v_cmp_lt_i32_e32 vcc, 0, v30
	s_and_saveexec_b64 s[12:13], vcc
	s_cbranch_execz .LBB3_127
; %bb.125:                              ;   in Loop: Header=BB3_17 Depth=1
	v_cmp_lt_f32_e32 vcc, 0, v5
	v_xor_b32_e32 v2, 0x80000000, v5
	v_cndmask_b32_e64 v3, v23, 0, vcc
	v_xor_b32_e32 v2, v3, v2
	v_lshrrev_b32_e32 v2, s34, v2
	v_and_b32_e32 v2, s68, v2
	v_cmp_ne_u32_e32 vcc, v2, v29
	s_and_b64 exec, exec, vcc
	s_cbranch_execz .LBB3_127
; %bb.126:                              ;   in Loop: Header=BB3_17 Depth=1
	v_lshlrev_b32_e32 v2, 2, v29
	ds_add_u32 v2, v30 offset:640
.LBB3_127:                              ;   in Loop: Header=BB3_17 Depth=1
	s_or_b64 exec, exec, s[12:13]
	v_mov_b32_dpp v2, v12 quad_perm:[1,0,3,2] row_mask:0xf bank_mask:0xf bound_ctrl:1
	v_cmp_lt_f32_e32 vcc, v12, v2
	v_cndmask_b32_e32 v2, v2, v12, vcc
	s_nop 1
	v_mov_b32_dpp v3, v2 quad_perm:[2,3,0,1] row_mask:0xf bank_mask:0xf bound_ctrl:1
	v_cmp_lt_f32_e32 vcc, v2, v3
	v_cndmask_b32_e32 v2, v3, v2, vcc
	s_nop 1
	v_mov_b32_dpp v3, v2 row_ror:4 row_mask:0xf bank_mask:0xf bound_ctrl:1
	v_cmp_lt_f32_e32 vcc, v2, v3
	v_cndmask_b32_e32 v2, v3, v2, vcc
	s_nop 1
	v_mov_b32_dpp v3, v2 row_ror:8 row_mask:0xf bank_mask:0xf bound_ctrl:1
	v_cmp_lt_f32_e32 vcc, v2, v3
	v_cndmask_b32_e32 v2, v3, v2, vcc
	s_nop 1
	v_mov_b32_dpp v3, v2 row_bcast:15 row_mask:0xf bank_mask:0xf bound_ctrl:1
	v_cmp_lt_f32_e32 vcc, v2, v3
	v_cndmask_b32_e32 v2, v3, v2, vcc
	s_nop 1
	v_mov_b32_dpp v3, v2 row_bcast:31 row_mask:0xf bank_mask:0xf bound_ctrl:1
	v_cmp_lt_f32_e32 vcc, v2, v3
	v_cndmask_b32_e32 v2, v3, v2, vcc
	ds_bpermute_b32 v2, v27, v2
	v_cmp_eq_u32_e32 vcc, 0, v26
	s_and_saveexec_b64 s[12:13], vcc
	s_cbranch_execz .LBB3_129
; %bb.128:                              ;   in Loop: Header=BB3_17 Depth=1
	s_waitcnt lgkmcnt(0)
	ds_write_b32 v17, v2
.LBB3_129:                              ;   in Loop: Header=BB3_17 Depth=1
	s_or_b64 exec, exec, s[12:13]
	v_and_b32_e32 v3, 15, v26
	v_lshlrev_b32_e32 v4, 2, v3
	s_waitcnt lgkmcnt(0)
	s_barrier
	s_and_saveexec_b64 s[36:37], s[4:5]
	s_cbranch_execz .LBB3_131
; %bb.130:                              ;   in Loop: Header=BB3_17 Depth=1
	ds_read_b32 v2, v4 offset:25472
	v_cmp_ne_u32_e64 s[12:13], 15, v3
	v_addc_co_u32_e64 v5, s[12:13], 0, v26, s[12:13]
	v_lshlrev_b32_e32 v5, 2, v5
	s_waitcnt lgkmcnt(0)
	ds_bpermute_b32 v5, v5, v2
	v_cmp_gt_u32_e64 s[12:13], 14, v3
	v_cndmask_b32_e64 v10, 0, 1, s[12:13]
	v_lshlrev_b32_e32 v10, 1, v10
	s_waitcnt lgkmcnt(0)
	v_cmp_gt_f32_e64 s[12:13], v2, v5
	v_cndmask_b32_e64 v2, v2, v5, s[12:13]
	v_add_lshl_u32 v5, v10, v26, 2
	ds_bpermute_b32 v5, v5, v2
	v_cmp_gt_u32_e64 s[12:13], 12, v3
	v_cndmask_b32_e64 v10, 0, 1, s[12:13]
	s_waitcnt lgkmcnt(0)
	v_cmp_gt_f32_e64 s[12:13], v2, v5
	v_cndmask_b32_e64 v2, v2, v5, s[12:13]
	v_lshlrev_b32_e32 v5, 2, v10
	v_add_lshl_u32 v5, v5, v26, 2
	ds_bpermute_b32 v5, v5, v2
	s_waitcnt lgkmcnt(0)
	v_cmp_gt_f32_e64 s[12:13], v2, v5
	v_cndmask_b32_e64 v2, v2, v5, s[12:13]
	v_cmp_gt_u32_e64 s[12:13], 8, v3
	v_cndmask_b32_e64 v5, 0, 1, s[12:13]
	v_lshlrev_b32_e32 v5, 3, v5
	v_add_lshl_u32 v5, v5, v26, 2
	ds_bpermute_b32 v5, v5, v2
	s_waitcnt lgkmcnt(0)
	v_cmp_gt_f32_e64 s[12:13], v2, v5
	v_cndmask_b32_e64 v2, v2, v5, s[12:13]
.LBB3_131:                              ;   in Loop: Header=BB3_17 Depth=1
	s_or_b64 exec, exec, s[36:37]
	v_mov_b32_dpp v5, v1 quad_perm:[1,0,3,2] row_mask:0xf bank_mask:0xf bound_ctrl:1
	v_cmp_gt_f32_e64 s[12:13], v1, v5
	v_cndmask_b32_e64 v1, v5, v1, s[12:13]
	s_nop 1
	v_mov_b32_dpp v5, v1 quad_perm:[2,3,0,1] row_mask:0xf bank_mask:0xf bound_ctrl:1
	v_cmp_gt_f32_e64 s[12:13], v1, v5
	v_cndmask_b32_e64 v1, v5, v1, s[12:13]
	s_nop 1
	v_mov_b32_dpp v5, v1 row_ror:4 row_mask:0xf bank_mask:0xf bound_ctrl:1
	v_cmp_gt_f32_e64 s[12:13], v1, v5
	v_cndmask_b32_e64 v1, v5, v1, s[12:13]
	s_nop 1
	v_mov_b32_dpp v5, v1 row_ror:8 row_mask:0xf bank_mask:0xf bound_ctrl:1
	v_cmp_gt_f32_e64 s[12:13], v1, v5
	v_cndmask_b32_e64 v1, v5, v1, s[12:13]
	s_nop 1
	v_mov_b32_dpp v5, v1 row_bcast:15 row_mask:0xf bank_mask:0xf bound_ctrl:1
	v_cmp_gt_f32_e64 s[12:13], v1, v5
	v_cndmask_b32_e64 v1, v5, v1, s[12:13]
	s_nop 1
	v_mov_b32_dpp v5, v1 row_bcast:31 row_mask:0xf bank_mask:0xf bound_ctrl:1
	v_cmp_gt_f32_e64 s[12:13], v1, v5
	v_cndmask_b32_e64 v1, v5, v1, s[12:13]
	ds_bpermute_b32 v1, v27, v1
	s_and_saveexec_b64 s[12:13], vcc
	s_cbranch_execz .LBB3_133
; %bb.132:                              ;   in Loop: Header=BB3_17 Depth=1
	s_waitcnt lgkmcnt(0)
	ds_write_b32 v17, v1
.LBB3_133:                              ;   in Loop: Header=BB3_17 Depth=1
	s_or_b64 exec, exec, s[12:13]
	s_waitcnt lgkmcnt(0)
	s_barrier
	s_and_saveexec_b64 s[12:13], s[4:5]
	s_cbranch_execz .LBB3_135
; %bb.134:                              ;   in Loop: Header=BB3_17 Depth=1
	ds_read_b32 v1, v4 offset:25472
	v_cmp_ne_u32_e32 vcc, 15, v3
	v_addc_co_u32_e32 v4, vcc, 0, v26, vcc
	v_lshlrev_b32_e32 v4, 2, v4
	s_waitcnt lgkmcnt(0)
	ds_bpermute_b32 v4, v4, v1
	v_cmp_gt_u32_e32 vcc, 14, v3
	v_cndmask_b32_e64 v5, 0, 1, vcc
	v_lshlrev_b32_e32 v5, 1, v5
	s_waitcnt lgkmcnt(0)
	v_cmp_lt_f32_e32 vcc, v1, v4
	v_cndmask_b32_e32 v1, v1, v4, vcc
	v_add_lshl_u32 v4, v5, v26, 2
	ds_bpermute_b32 v4, v4, v1
	v_cmp_gt_u32_e32 vcc, 12, v3
	v_cndmask_b32_e64 v5, 0, 1, vcc
	s_waitcnt lgkmcnt(0)
	v_cmp_lt_f32_e32 vcc, v1, v4
	v_cndmask_b32_e32 v1, v1, v4, vcc
	v_lshlrev_b32_e32 v4, 2, v5
	v_add_lshl_u32 v4, v4, v26, 2
	ds_bpermute_b32 v4, v4, v1
	s_waitcnt lgkmcnt(0)
	v_cmp_lt_f32_e32 vcc, v1, v4
	v_cndmask_b32_e32 v1, v1, v4, vcc
	v_cmp_gt_u32_e32 vcc, 8, v3
	v_cndmask_b32_e64 v3, 0, 1, vcc
	v_lshlrev_b32_e32 v3, 3, v3
	v_add_lshl_u32 v3, v3, v26, 2
	ds_bpermute_b32 v3, v3, v1
	s_waitcnt lgkmcnt(0)
	v_cmp_lt_f32_e32 vcc, v1, v3
	v_cndmask_b32_e32 v1, v1, v3, vcc
.LBB3_135:                              ;   in Loop: Header=BB3_17 Depth=1
	s_or_b64 exec, exec, s[12:13]
	s_and_saveexec_b64 s[12:13], s[2:3]
	s_cbranch_execz .LBB3_137
; %bb.136:                              ;   in Loop: Header=BB3_17 Depth=1
	v_cmp_gt_f32_e32 vcc, 0, v2
	v_cndmask_b32_e64 v3, v28, 0, vcc
	v_cmp_gt_f32_e32 vcc, 0, v1
	v_xor_b32_e32 v2, v3, v2
	v_cndmask_b32_e64 v4, v28, 0, vcc
	v_xor_b32_e32 v1, v2, v1
	v_xor_b32_e32 v1, v1, v4
	v_cmp_gt_u32_e32 vcc, s65, v1
	v_cndmask_b32_e64 v1, 0, 1, vcc
	ds_write_b8 v16, v1 offset:25536
.LBB3_137:                              ;   in Loop: Header=BB3_17 Depth=1
	s_or_b64 exec, exec, s[12:13]
	s_waitcnt lgkmcnt(0)
	s_barrier
	ds_read_u8 v1, v16 offset:25536
	s_waitcnt lgkmcnt(0)
	v_readfirstlane_b32 s12, v1
	s_bitcmp1_b32 s12, 0
	s_cselect_b64 s[38:39], -1, 0
.LBB3_138:                              ;   in Loop: Header=BB3_17 Depth=1
	s_and_b64 s[12:13], s[38:39], exec
	s_cselect_b32 s20, 0x800, 0
	s_waitcnt lgkmcnt(0)
	v_or_b32_e32 v1, s20, v0
	v_lshlrev_b32_e32 v1, 2, v1
	v_add_u32_e32 v2, 0x280, v1
	v_mov_b32_e32 v3, s35
	s_barrier
	flat_load_dword v10, v[2:3] glc
	s_waitcnt vmcnt(0)
	v_add_u32_e32 v4, 0x1280, v1
	v_mov_b32_e32 v5, s35
	flat_load_dword v1, v[4:5] glc
	s_waitcnt vmcnt(0) lgkmcnt(0)
	ds_write_b32 v13, v10
	ds_write_b32 v14, v1 offset:4096
	s_waitcnt lgkmcnt(0)
	s_barrier
	ds_read2_b32 v[10:11], v15 offset1:1
	s_waitcnt lgkmcnt(0)
	s_barrier
	v_add_u32_e32 v1, v11, v10
	ds_write_b32 v13, v1
	s_waitcnt lgkmcnt(0)
	s_barrier
	s_and_saveexec_b64 s[12:13], s[4:5]
	s_cbranch_execz .LBB3_140
; %bb.139:                              ;   in Loop: Header=BB3_17 Depth=1
	ds_read2_b32 v[30:31], v18 offset1:1
	ds_read2_b32 v[32:33], v18 offset0:2 offset1:3
	ds_read2_b32 v[34:35], v18 offset0:4 offset1:5
	;; [unrolled: 1-line block ×3, first 2 shown]
	v_and_b32_e32 v29, 15, v26
	s_waitcnt lgkmcnt(3)
	v_add_u32_e32 v12, v31, v30
	s_waitcnt lgkmcnt(2)
	v_add3_u32 v12, v12, v32, v33
	s_waitcnt lgkmcnt(1)
	v_add3_u32 v12, v12, v34, v35
	ds_read2_b32 v[32:33], v18 offset0:8 offset1:9
	ds_read2_b32 v[34:35], v18 offset0:10 offset1:11
	;; [unrolled: 1-line block ×4, first 2 shown]
	s_waitcnt lgkmcnt(4)
	v_add3_u32 v12, v12, v36, v37
	s_waitcnt lgkmcnt(3)
	v_add3_u32 v12, v12, v32, v33
	;; [unrolled: 2-line block ×5, first 2 shown]
	v_cmp_ne_u32_e32 vcc, 0, v29
	s_nop 0
	v_mov_b32_dpp v31, v12 row_shr:1 row_mask:0xf bank_mask:0xf
	v_cndmask_b32_e32 v31, 0, v31, vcc
	v_add_u32_e32 v12, v31, v12
	v_cmp_lt_u32_e32 vcc, 1, v29
	; wave barrier
	s_nop 0
	v_mov_b32_dpp v31, v12 row_shr:2 row_mask:0xf bank_mask:0xf
	v_cndmask_b32_e32 v31, 0, v31, vcc
	v_add_u32_e32 v12, v12, v31
	v_cmp_lt_u32_e32 vcc, 3, v29
	s_nop 0
	v_mov_b32_dpp v31, v12 row_shr:4 row_mask:0xf bank_mask:0xf
	v_cndmask_b32_e32 v31, 0, v31, vcc
	v_add_u32_e32 v12, v12, v31
	v_cmp_lt_u32_e32 vcc, 7, v29
	s_nop 0
	v_mov_b32_dpp v31, v12 row_shr:8 row_mask:0xf bank_mask:0xf
	v_cndmask_b32_e32 v29, 0, v31, vcc
	v_add_u32_e32 v12, v12, v29
	v_bfe_i32 v31, v26, 4, 1
	v_cmp_lt_u32_e32 vcc, 31, v26
	v_mov_b32_dpp v29, v12 row_bcast:15 row_mask:0xf bank_mask:0xf
	v_and_b32_e32 v29, v31, v29
	v_add_u32_e32 v12, v12, v29
	v_and_b32_e32 v31, 64, v26
	s_nop 0
	v_mov_b32_dpp v29, v12 row_bcast:31 row_mask:0xf bank_mask:0xf
	v_cndmask_b32_e32 v29, 0, v29, vcc
	v_add_u32_e32 v12, v12, v29
	v_add_u32_e32 v29, -1, v26
	v_cmp_lt_i32_e32 vcc, v29, v31
	v_cndmask_b32_e32 v29, v29, v26, vcc
	v_lshlrev_b32_e32 v29, 2, v29
	ds_bpermute_b32 v12, v29, v12
	s_waitcnt lgkmcnt(0)
	v_add_u32_e32 v12, v12, v30
	v_cndmask_b32_e64 v12, v12, v1, s[2:3]
	ds_write_b32 v18, v12
	; wave barrier
	ds_read2_b32 v[30:31], v18 offset0:1 offset1:2
	ds_read2_b32 v[32:33], v18 offset0:3 offset1:4
	;; [unrolled: 1-line block ×4, first 2 shown]
	s_waitcnt lgkmcnt(3)
	v_add_u32_e32 v12, v30, v12
	v_add_u32_e32 v29, v31, v12
	ds_write2_b32 v18, v12, v29 offset0:1 offset1:2
	s_waitcnt lgkmcnt(3)
	v_add_u32_e32 v12, v32, v29
	v_add_u32_e32 v29, v33, v12
	ds_write2_b32 v18, v12, v29 offset0:3 offset1:4
	s_waitcnt lgkmcnt(3)
	v_add_u32_e32 v12, v34, v29
	v_add_u32_e32 v29, v35, v12
	ds_read2_b32 v[30:31], v18 offset0:9 offset1:10
	ds_write2_b32 v18, v12, v29 offset0:5 offset1:6
	s_waitcnt lgkmcnt(4)
	v_add_u32_e32 v12, v36, v29
	v_add_u32_e32 v29, v37, v12
	ds_write2_b32 v18, v12, v29 offset0:7 offset1:8
	ds_read2_b32 v[32:33], v18 offset0:11 offset1:12
	ds_read2_b32 v[34:35], v18 offset0:13 offset1:14
	ds_read_b32 v12, v18 offset:60
	s_waitcnt lgkmcnt(5)
	v_add_u32_e32 v29, v30, v29
	v_add_u32_e32 v30, v31, v29
	ds_write2_b32 v18, v29, v30 offset0:9 offset1:10
	s_waitcnt lgkmcnt(3)
	v_add_u32_e32 v29, v32, v30
	v_add_u32_e32 v30, v33, v29
	ds_write2_b32 v18, v29, v30 offset0:11 offset1:12
	s_waitcnt lgkmcnt(3)
	v_add_u32_e32 v29, v34, v30
	v_add_u32_e32 v30, v35, v29
	s_waitcnt lgkmcnt(2)
	v_add_u32_e32 v12, v12, v30
	ds_write2_b32 v18, v29, v30 offset0:13 offset1:14
	ds_write_b32 v18, v12 offset:60
.LBB3_140:                              ;   in Loop: Header=BB3_17 Depth=1
	s_or_b64 exec, exec, s[12:13]
	v_mov_b32_e32 v29, v1
	s_waitcnt lgkmcnt(0)
	s_barrier
	s_and_saveexec_b64 s[12:13], s[0:1]
	s_cbranch_execz .LBB3_142
; %bb.141:                              ;   in Loop: Header=BB3_17 Depth=1
	ds_read_b32 v29, v19
.LBB3_142:                              ;   in Loop: Header=BB3_17 Depth=1
	s_or_b64 exec, exec, s[12:13]
	v_mov_b32_e32 v12, v10
	s_and_saveexec_b64 s[12:13], s[0:1]
	s_cbranch_execz .LBB3_144
; %bb.143:                              ;   in Loop: Header=BB3_17 Depth=1
	s_waitcnt lgkmcnt(0)
	v_add_u32_e32 v12, v29, v10
	v_add_u32_e32 v1, v12, v11
	;;#ASMSTART
	;;#ASMEND
.LBB3_144:                              ;   in Loop: Header=BB3_17 Depth=1
	s_or_b64 exec, exec, s[12:13]
	s_waitcnt lgkmcnt(0)
	s_barrier
	ds_write2_b32 v15, v12, v1 offset1:1
	s_waitcnt lgkmcnt(0)
	s_barrier
	ds_read_b32 v1, v13
	ds_read_b32 v10, v14 offset:4096
	s_and_b64 s[12:13], s[38:39], exec
	s_waitcnt lgkmcnt(1)
	flat_store_dword v[2:3], v1
	s_waitcnt vmcnt(0) lgkmcnt(0)
	flat_store_dword v[4:5], v10
	s_waitcnt vmcnt(0) lgkmcnt(0)
	s_barrier
	s_cselect_b32 s12, 3, 0
	ds_read_b32 v1, v16 offset:12
	s_add_i32 s12, s12, s66
	s_mul_i32 s12, s12, -11
	s_max_i32 s40, s12, 0xffffffeb
	s_add_i32 s40, s40, 21
	v_lshl_add_u32 v2, s20, 2, v21
	s_mov_b64 s[36:37], 0
	v_mov_b32_e32 v3, v0
	s_branch .LBB3_146
.LBB3_145:                              ;   in Loop: Header=BB3_146 Depth=2
	s_or_b64 exec, exec, s[12:13]
	v_add_u32_e32 v3, s54, v3
	v_cmp_lt_u32_e32 vcc, s64, v3
	s_or_b64 s[36:37], vcc, s[36:37]
	v_add_u32_e32 v2, s62, v2
	s_andn2_b64 exec, exec, s[36:37]
	s_cbranch_execz .LBB3_150
.LBB3_146:                              ;   Parent Loop BB3_17 Depth=1
                                        ; =>  This Inner Loop Header: Depth=2
	v_cmp_ne_u32_e32 vcc, 0, v3
	v_mov_b32_e32 v4, 0
	s_and_saveexec_b64 s[12:13], vcc
	s_cbranch_execz .LBB3_148
; %bb.147:                              ;   in Loop: Header=BB3_146 Depth=2
	ds_read_b32 v4, v2
.LBB3_148:                              ;   in Loop: Header=BB3_146 Depth=2
	s_or_b64 exec, exec, s[12:13]
	ds_read_b32 v5, v2 offset:4
	s_waitcnt lgkmcnt(1)
	v_cmp_gt_i32_e32 vcc, s67, v4
	s_waitcnt lgkmcnt(0)
	v_cmp_le_i32_e64 s[12:13], s67, v5
	s_and_b64 s[42:43], vcc, s[12:13]
	s_and_saveexec_b64 s[12:13], s[42:43]
	s_cbranch_execz .LBB3_145
; %bb.149:                              ;   in Loop: Header=BB3_146 Depth=2
	v_sub_u32_e32 v5, v5, v4
	v_sub_u32_e32 v4, s67, v4
	v_lshl_or_b32 v1, v3, s40, v1
	ds_write_b64 v16, v[4:5]
	ds_write_b32 v16, v1 offset:12
	s_branch .LBB3_145
.LBB3_150:                              ;   in Loop: Header=BB3_17 Depth=1
	s_or_b64 exec, exec, s[36:37]
	s_and_saveexec_b64 s[12:13], s[2:3]
	s_cbranch_execz .LBB3_152
; %bb.151:                              ;   in Loop: Header=BB3_17 Depth=1
	v_mov_b32_e32 v1, s56
	ds_write_b32 v16, v1 offset:8
.LBB3_152:                              ;   in Loop: Header=BB3_17 Depth=1
	s_or_b64 exec, exec, s[12:13]
	s_cmp_lg_u32 s66, 2
	s_cselect_b64 s[36:37], -1, 0
	s_xor_b64 s[40:41], s[38:39], -1
	s_and_b64 s[36:37], s[36:37], s[40:41]
	s_mov_b64 s[12:13], -1
	s_and_b64 vcc, exec, s[36:37]
	s_mov_b64 s[36:37], -1
	s_waitcnt lgkmcnt(0)
	s_barrier
	s_waitcnt lgkmcnt(0)
                                        ; implicit-def: $vgpr2
	s_cbranch_vccz .LBB3_16
; %bb.153:                              ;   in Loop: Header=BB3_17 Depth=1
	ds_read_b64 v[2:3], v16
	s_add_i32 s66, s66, 1
	s_mov_b64 s[12:13], 0
	s_waitcnt lgkmcnt(0)
	v_cmp_eq_u32_e64 s[36:37], v3, v2
	s_branch .LBB3_16
.LBB3_154:
	s_andn2_b64 vcc, exec, s[12:13]
	s_mov_b64 s[0:1], -1
	s_cbranch_vccz .LBB3_194
; %bb.155:
	v_mov_b32_e32 v1, 0
	ds_read_b32 v1, v1 offset:12
	s_cmp_eq_u64 s[16:17], 0
	s_cselect_b32 s3, s15, s58
	s_cselect_b32 s2, s14, s57
	;; [unrolled: 1-line block ×5, first 2 shown]
	s_cmp_eq_u64 s[2:3], 0
	v_cmp_gt_i32_e64 s[0:1], s23, v0
	s_cbranch_scc1 .LBB3_174
; %bb.156:
	s_and_saveexec_b64 s[4:5], s[0:1]
	s_cbranch_execz .LBB3_173
; %bb.157:
	s_lshl_b32 s25, -1, s34
	s_mov_b64 s[6:7], 0
	v_mov_b32_e32 v3, s24
	v_bfrev_b32_e32 v10, -2
	v_mov_b32_e32 v11, 0
	v_mov_b32_e32 v4, v0
	s_branch .LBB3_159
.LBB3_158:                              ;   in Loop: Header=BB3_159 Depth=1
	s_or_b64 exec, exec, s[8:9]
	v_add_u32_e32 v4, s54, v4
	v_cmp_le_i32_e32 vcc, s23, v4
	s_or_b64 s[6:7], vcc, s[6:7]
	s_andn2_b64 exec, exec, s[6:7]
	s_cbranch_execz .LBB3_173
.LBB3_159:                              ; =>This Inner Loop Header: Depth=1
	s_waitcnt vmcnt(0)
	v_ashrrev_i32_e32 v5, 31, v4
	v_lshlrev_b64 v[8:9], 2, v[4:5]
	v_add_co_u32_e32 v6, vcc, s22, v8
	v_addc_co_u32_e32 v7, vcc, v3, v9, vcc
	flat_load_dword v5, v[6:7]
	s_mov_b64 s[10:11], 0
	s_waitcnt vmcnt(0) lgkmcnt(0)
	v_cmp_gt_f32_e32 vcc, 0, v5
	v_cndmask_b32_e64 v6, v10, 0, vcc
	v_xor_b32_e32 v5, v6, v5
	v_and_b32_e32 v7, s25, v5
	v_cmp_ge_u32_e32 vcc, v7, v1
                                        ; implicit-def: $vgpr5
                                        ; implicit-def: $vgpr6
	s_and_saveexec_b64 s[8:9], vcc
	s_xor_b64 s[8:9], exec, s[8:9]
	s_cbranch_execnz .LBB3_162
; %bb.160:                              ;   in Loop: Header=BB3_159 Depth=1
	s_andn2_saveexec_b64 s[8:9], s[8:9]
	s_cbranch_execnz .LBB3_169
.LBB3_161:                              ;   in Loop: Header=BB3_159 Depth=1
	s_or_b64 exec, exec, s[8:9]
	s_and_saveexec_b64 s[8:9], s[10:11]
	s_cbranch_execz .LBB3_158
	s_branch .LBB3_172
.LBB3_162:                              ;   in Loop: Header=BB3_159 Depth=1
	v_cmp_eq_u32_e32 vcc, v7, v1
	s_mov_b64 s[12:13], 0
                                        ; implicit-def: $vgpr5
                                        ; implicit-def: $vgpr6
	s_and_saveexec_b64 s[10:11], vcc
	s_cbranch_execz .LBB3_168
; %bb.163:                              ;   in Loop: Header=BB3_159 Depth=1
	v_mov_b32_e32 v5, s3
	v_add_co_u32_e32 v6, vcc, s2, v8
	v_addc_co_u32_e32 v7, vcc, v5, v9, vcc
	flat_load_dword v5, v[6:7]
	s_mov_b64 s[12:13], exec
	v_mbcnt_lo_u32_b32 v6, s12, 0
	v_mbcnt_hi_u32_b32 v6, s13, v6
	v_cmp_eq_u32_e32 vcc, 0, v6
                                        ; implicit-def: $vgpr7
	s_and_saveexec_b64 s[20:21], vcc
	s_cbranch_execz .LBB3_165
; %bb.164:                              ;   in Loop: Header=BB3_159 Depth=1
	s_bcnt1_i32_b64 s12, s[12:13]
	v_mov_b32_e32 v7, s12
	ds_add_rtn_u32 v7, v11, v7 offset:512
.LBB3_165:                              ;   in Loop: Header=BB3_159 Depth=1
	s_or_b64 exec, exec, s[20:21]
	s_waitcnt lgkmcnt(0)
	v_readfirstlane_b32 s12, v7
	v_add_u32_e32 v7, s12, v6
	v_cmp_lt_i32_e32 vcc, v7, v2
	s_mov_b64 s[12:13], 0
                                        ; implicit-def: $vgpr6
	s_and_saveexec_b64 s[20:21], vcc
	s_xor_b64 s[20:21], exec, s[20:21]
; %bb.166:                              ;   in Loop: Header=BB3_159 Depth=1
	s_mov_b64 s[12:13], exec
	v_xad_u32 v6, v7, -1, s33
; %bb.167:                              ;   in Loop: Header=BB3_159 Depth=1
	s_or_b64 exec, exec, s[20:21]
	s_and_b64 s[12:13], s[12:13], exec
.LBB3_168:                              ;   in Loop: Header=BB3_159 Depth=1
	s_or_b64 exec, exec, s[10:11]
	s_and_b64 s[10:11], s[12:13], exec
                                        ; implicit-def: $vgpr8_vgpr9
	s_andn2_saveexec_b64 s[8:9], s[8:9]
	s_cbranch_execz .LBB3_161
.LBB3_169:                              ;   in Loop: Header=BB3_159 Depth=1
	s_mov_b64 s[20:21], exec
	s_waitcnt vmcnt(0)
	v_mbcnt_lo_u32_b32 v5, s20, 0
	v_mbcnt_hi_u32_b32 v6, s21, v5
	v_cmp_eq_u32_e32 vcc, 0, v6
                                        ; implicit-def: $vgpr7
	s_and_saveexec_b64 s[12:13], vcc
	s_cbranch_execz .LBB3_171
; %bb.170:                              ;   in Loop: Header=BB3_159 Depth=1
	s_bcnt1_i32_b64 s20, s[20:21]
	v_mov_b32_e32 v5, s20
	ds_add_rtn_u32 v7, v11, v5 offset:384
.LBB3_171:                              ;   in Loop: Header=BB3_159 Depth=1
	s_or_b64 exec, exec, s[12:13]
	v_mov_b32_e32 v5, s3
	v_add_co_u32_e32 v8, vcc, s2, v8
	v_addc_co_u32_e32 v9, vcc, v5, v9, vcc
	flat_load_dword v5, v[8:9]
	s_waitcnt lgkmcnt(0)
	v_readfirstlane_b32 s12, v7
	v_add_u32_e32 v6, s12, v6
	s_or_b64 s[10:11], s[10:11], exec
	s_or_b64 exec, exec, s[8:9]
	s_and_saveexec_b64 s[8:9], s[10:11]
	s_cbranch_execz .LBB3_158
.LBB3_172:                              ;   in Loop: Header=BB3_159 Depth=1
	v_ashrrev_i32_e32 v7, 31, v6
	v_lshlrev_b64 v[6:7], 2, v[6:7]
	v_mov_b32_e32 v8, s53
	v_add_co_u32_e32 v6, vcc, s52, v6
	v_addc_co_u32_e32 v7, vcc, v8, v7, vcc
	s_waitcnt vmcnt(0)
	global_store_dword v[6:7], v5, off
	s_branch .LBB3_158
.LBB3_173:
	s_or_b64 exec, exec, s[4:5]
	s_cbranch_execz .LBB3_175
	s_branch .LBB3_193
.LBB3_174:
.LBB3_175:
	s_and_saveexec_b64 s[2:3], s[0:1]
	s_cbranch_execz .LBB3_192
; %bb.176:
	s_lshl_b32 s12, -1, s34
	s_mov_b64 s[0:1], 0
	v_mov_b32_e32 v3, s24
	v_bfrev_b32_e32 v8, -2
	v_mov_b32_e32 v9, 0
	v_mov_b32_e32 v4, v0
	s_branch .LBB3_178
.LBB3_177:                              ;   in Loop: Header=BB3_178 Depth=1
	s_or_b64 exec, exec, s[4:5]
	v_add_u32_e32 v4, s54, v4
	v_cmp_le_i32_e32 vcc, s23, v4
	s_or_b64 s[0:1], vcc, s[0:1]
	s_andn2_b64 exec, exec, s[0:1]
	s_cbranch_execz .LBB3_192
.LBB3_178:                              ; =>This Inner Loop Header: Depth=1
	s_waitcnt vmcnt(0)
	v_ashrrev_i32_e32 v5, 31, v4
	v_lshlrev_b64 v[6:7], 2, v[4:5]
	v_add_co_u32_e32 v6, vcc, s22, v6
	v_addc_co_u32_e32 v7, vcc, v3, v7, vcc
	flat_load_dword v5, v[6:7]
	s_mov_b64 s[6:7], 0
	s_waitcnt vmcnt(0) lgkmcnt(0)
	v_cmp_gt_f32_e32 vcc, 0, v5
	v_cndmask_b32_e64 v6, v8, 0, vcc
	v_xor_b32_e32 v5, v6, v5
	v_and_b32_e32 v5, s12, v5
	v_cmp_ge_u32_e32 vcc, v5, v1
                                        ; implicit-def: $vgpr6
	s_and_saveexec_b64 s[4:5], vcc
	s_xor_b64 s[4:5], exec, s[4:5]
	s_cbranch_execnz .LBB3_181
; %bb.179:                              ;   in Loop: Header=BB3_178 Depth=1
	s_andn2_saveexec_b64 s[4:5], s[4:5]
	s_cbranch_execnz .LBB3_188
.LBB3_180:                              ;   in Loop: Header=BB3_178 Depth=1
	s_or_b64 exec, exec, s[4:5]
	s_and_saveexec_b64 s[4:5], s[6:7]
	s_cbranch_execz .LBB3_177
	s_branch .LBB3_191
.LBB3_181:                              ;   in Loop: Header=BB3_178 Depth=1
	v_cmp_eq_u32_e32 vcc, v5, v1
	s_mov_b64 s[8:9], 0
                                        ; implicit-def: $vgpr6
	s_and_saveexec_b64 s[6:7], vcc
	s_cbranch_execz .LBB3_187
; %bb.182:                              ;   in Loop: Header=BB3_178 Depth=1
	s_mov_b64 s[10:11], exec
	v_mbcnt_lo_u32_b32 v5, s10, 0
	v_mbcnt_hi_u32_b32 v5, s11, v5
	v_cmp_eq_u32_e32 vcc, 0, v5
                                        ; implicit-def: $vgpr6
	s_and_saveexec_b64 s[8:9], vcc
	s_cbranch_execz .LBB3_184
; %bb.183:                              ;   in Loop: Header=BB3_178 Depth=1
	s_bcnt1_i32_b64 s10, s[10:11]
	v_mov_b32_e32 v6, s10
	ds_add_rtn_u32 v6, v9, v6 offset:512
.LBB3_184:                              ;   in Loop: Header=BB3_178 Depth=1
	s_or_b64 exec, exec, s[8:9]
	s_waitcnt lgkmcnt(0)
	v_readfirstlane_b32 s8, v6
	v_add_u32_e32 v5, s8, v5
	v_cmp_lt_i32_e32 vcc, v5, v2
	s_mov_b64 s[8:9], 0
                                        ; implicit-def: $vgpr6
	s_and_saveexec_b64 s[10:11], vcc
	s_xor_b64 s[10:11], exec, s[10:11]
; %bb.185:                              ;   in Loop: Header=BB3_178 Depth=1
	s_mov_b64 s[8:9], exec
	v_xad_u32 v6, v5, -1, s33
; %bb.186:                              ;   in Loop: Header=BB3_178 Depth=1
	s_or_b64 exec, exec, s[10:11]
	s_and_b64 s[8:9], s[8:9], exec
.LBB3_187:                              ;   in Loop: Header=BB3_178 Depth=1
	s_or_b64 exec, exec, s[6:7]
	s_and_b64 s[6:7], s[8:9], exec
	s_andn2_saveexec_b64 s[4:5], s[4:5]
	s_cbranch_execz .LBB3_180
.LBB3_188:                              ;   in Loop: Header=BB3_178 Depth=1
	s_mov_b64 s[10:11], exec
	v_mbcnt_lo_u32_b32 v5, s10, 0
	v_mbcnt_hi_u32_b32 v5, s11, v5
	v_cmp_eq_u32_e32 vcc, 0, v5
                                        ; implicit-def: $vgpr6
	s_and_saveexec_b64 s[8:9], vcc
	s_cbranch_execz .LBB3_190
; %bb.189:                              ;   in Loop: Header=BB3_178 Depth=1
	s_bcnt1_i32_b64 s10, s[10:11]
	v_mov_b32_e32 v6, s10
	ds_add_rtn_u32 v6, v9, v6 offset:384
.LBB3_190:                              ;   in Loop: Header=BB3_178 Depth=1
	s_or_b64 exec, exec, s[8:9]
	s_waitcnt lgkmcnt(0)
	v_readfirstlane_b32 s8, v6
	v_add_u32_e32 v6, s8, v5
	s_or_b64 s[6:7], s[6:7], exec
	s_or_b64 exec, exec, s[4:5]
	s_and_saveexec_b64 s[4:5], s[6:7]
	s_cbranch_execz .LBB3_177
.LBB3_191:                              ;   in Loop: Header=BB3_178 Depth=1
	v_ashrrev_i32_e32 v7, 31, v6
	v_lshlrev_b64 v[6:7], 2, v[6:7]
	v_mov_b32_e32 v5, s53
	v_add_co_u32_e32 v6, vcc, s52, v6
	v_addc_co_u32_e32 v7, vcc, v5, v7, vcc
	global_store_dword v[6:7], v4, off
	s_branch .LBB3_177
.LBB3_192:
	s_or_b64 exec, exec, s[2:3]
.LBB3_193:
	s_mov_b64 s[0:1], 0
.LBB3_194:
	s_andn2_b64 vcc, exec, s[0:1]
	s_cbranch_vccnz .LBB3_240
; %bb.195:
	s_waitcnt lgkmcnt(0)
	v_mov_b32_e32 v1, 0
	ds_read2_b32 v[2:3], v1 offset1:3
	s_xor_b64 s[4:5], s[38:39], -1
	s_cmp_eq_u64 s[16:17], 0
	s_cselect_b32 s20, s19, s17
	s_cselect_b32 s7, s15, s58
	;; [unrolled: 1-line block ×5, first 2 shown]
	s_cmp_eq_u64 s[6:7], 0
	v_cmp_gt_i32_e64 s[0:1], s19, v0
	s_cbranch_scc1 .LBB3_218
; %bb.196:
	s_and_saveexec_b64 s[8:9], s[0:1]
	s_cbranch_execz .LBB3_217
; %bb.197:
	s_lshl_b32 s21, -1, s34
	s_mov_b64 s[10:11], 0
	v_mov_b32_e32 v1, s20
	v_mov_b32_e32 v10, 0
	v_bfrev_b32_e32 v11, -2
	v_mov_b32_e32 v12, 0x7ff
	v_mov_b32_e32 v4, v0
	s_branch .LBB3_199
.LBB3_198:                              ;   in Loop: Header=BB3_199 Depth=1
	s_or_b64 exec, exec, s[2:3]
	v_add_u32_e32 v4, s54, v4
	v_cmp_le_i32_e32 vcc, s19, v4
	s_or_b64 s[10:11], vcc, s[10:11]
	s_andn2_b64 exec, exec, s[10:11]
	s_cbranch_execz .LBB3_217
.LBB3_199:                              ; =>This Inner Loop Header: Depth=1
	s_waitcnt vmcnt(0)
	v_ashrrev_i32_e32 v5, 31, v4
	v_lshlrev_b64 v[6:7], 2, v[4:5]
	v_add_co_u32_e32 v8, vcc, s18, v6
	v_addc_co_u32_e32 v9, vcc, v1, v7, vcc
	flat_load_dword v5, v[8:9]
	s_and_b64 vcc, exec, s[4:5]
	s_waitcnt vmcnt(0) lgkmcnt(0)
	v_cmp_gt_f32_e64 s[2:3], 0, v5
	s_cbranch_vccz .LBB3_201
; %bb.200:                              ;   in Loop: Header=BB3_199 Depth=1
	v_cndmask_b32_e64 v8, v11, 0, s[2:3]
	v_xor_b32_e32 v8, v8, v5
	v_and_b32_e32 v9, s21, v8
	s_cbranch_execz .LBB3_202
	s_branch .LBB3_203
.LBB3_201:                              ;   in Loop: Header=BB3_199 Depth=1
                                        ; implicit-def: $vgpr9
.LBB3_202:                              ;   in Loop: Header=BB3_199 Depth=1
	v_cndmask_b32_e64 v8, v12, 0, s[2:3]
	v_and_b32_e32 v5, 0x7ff, v5
	v_xor_b32_e32 v9, v8, v5
.LBB3_203:                              ;   in Loop: Header=BB3_199 Depth=1
	v_cmp_ge_u32_e32 vcc, v9, v3
	s_mov_b64 s[12:13], 0
                                        ; implicit-def: $vgpr5
                                        ; implicit-def: $vgpr8
	s_and_saveexec_b64 s[2:3], vcc
	s_xor_b64 s[2:3], exec, s[2:3]
	s_cbranch_execnz .LBB3_206
; %bb.204:                              ;   in Loop: Header=BB3_199 Depth=1
	s_andn2_saveexec_b64 s[2:3], s[2:3]
	s_cbranch_execnz .LBB3_213
.LBB3_205:                              ;   in Loop: Header=BB3_199 Depth=1
	s_or_b64 exec, exec, s[2:3]
	s_and_saveexec_b64 s[2:3], s[12:13]
	s_cbranch_execz .LBB3_198
	s_branch .LBB3_216
.LBB3_206:                              ;   in Loop: Header=BB3_199 Depth=1
	v_cmp_eq_u32_e32 vcc, v9, v3
	s_mov_b64 s[14:15], 0
                                        ; implicit-def: $vgpr5
                                        ; implicit-def: $vgpr8
	s_and_saveexec_b64 s[12:13], vcc
	s_cbranch_execz .LBB3_212
; %bb.207:                              ;   in Loop: Header=BB3_199 Depth=1
	v_mov_b32_e32 v5, s7
	v_add_co_u32_e32 v6, vcc, s6, v6
	v_addc_co_u32_e32 v7, vcc, v5, v7, vcc
	flat_load_dword v5, v[6:7]
	s_mov_b64 s[14:15], exec
	v_mbcnt_lo_u32_b32 v6, s14, 0
	v_mbcnt_hi_u32_b32 v6, s15, v6
	v_cmp_eq_u32_e32 vcc, 0, v6
                                        ; implicit-def: $vgpr7
	s_and_saveexec_b64 s[16:17], vcc
	s_cbranch_execz .LBB3_209
; %bb.208:                              ;   in Loop: Header=BB3_199 Depth=1
	s_bcnt1_i32_b64 s14, s[14:15]
	v_mov_b32_e32 v7, s14
	ds_add_rtn_u32 v7, v10, v7 offset:512
.LBB3_209:                              ;   in Loop: Header=BB3_199 Depth=1
	s_or_b64 exec, exec, s[16:17]
	s_waitcnt lgkmcnt(0)
	v_readfirstlane_b32 s14, v7
	v_add_u32_e32 v6, s14, v6
	v_cmp_lt_i32_e32 vcc, v6, v2
	s_mov_b64 s[14:15], 0
                                        ; implicit-def: $vgpr8
	s_and_saveexec_b64 s[16:17], vcc
	s_xor_b64 s[16:17], exec, s[16:17]
; %bb.210:                              ;   in Loop: Header=BB3_199 Depth=1
	s_mov_b64 s[14:15], exec
	v_xad_u32 v8, v6, -1, s33
; %bb.211:                              ;   in Loop: Header=BB3_199 Depth=1
	s_or_b64 exec, exec, s[16:17]
	s_and_b64 s[14:15], s[14:15], exec
.LBB3_212:                              ;   in Loop: Header=BB3_199 Depth=1
	s_or_b64 exec, exec, s[12:13]
	s_and_b64 s[12:13], s[14:15], exec
                                        ; implicit-def: $vgpr6_vgpr7
	s_andn2_saveexec_b64 s[2:3], s[2:3]
	s_cbranch_execz .LBB3_205
.LBB3_213:                              ;   in Loop: Header=BB3_199 Depth=1
	s_mov_b64 s[16:17], exec
	s_waitcnt vmcnt(0)
	v_mbcnt_lo_u32_b32 v5, s16, 0
	v_mbcnt_hi_u32_b32 v8, s17, v5
	v_cmp_eq_u32_e32 vcc, 0, v8
                                        ; implicit-def: $vgpr9
	s_and_saveexec_b64 s[14:15], vcc
	s_cbranch_execz .LBB3_215
; %bb.214:                              ;   in Loop: Header=BB3_199 Depth=1
	s_bcnt1_i32_b64 s16, s[16:17]
	v_mov_b32_e32 v5, s16
	ds_add_rtn_u32 v9, v10, v5 offset:384
.LBB3_215:                              ;   in Loop: Header=BB3_199 Depth=1
	s_or_b64 exec, exec, s[14:15]
	v_mov_b32_e32 v5, s7
	v_add_co_u32_e32 v6, vcc, s6, v6
	v_addc_co_u32_e32 v7, vcc, v5, v7, vcc
	flat_load_dword v5, v[6:7]
	s_waitcnt lgkmcnt(0)
	v_readfirstlane_b32 s14, v9
	v_add_u32_e32 v8, s14, v8
	s_or_b64 s[12:13], s[12:13], exec
	s_or_b64 exec, exec, s[2:3]
	s_and_saveexec_b64 s[2:3], s[12:13]
	s_cbranch_execz .LBB3_198
.LBB3_216:                              ;   in Loop: Header=BB3_199 Depth=1
	v_ashrrev_i32_e32 v9, 31, v8
	v_lshlrev_b64 v[6:7], 2, v[8:9]
	v_mov_b32_e32 v8, s53
	v_add_co_u32_e32 v6, vcc, s52, v6
	v_addc_co_u32_e32 v7, vcc, v8, v7, vcc
	s_waitcnt vmcnt(0)
	global_store_dword v[6:7], v5, off
	s_branch .LBB3_198
.LBB3_217:
	s_or_b64 exec, exec, s[8:9]
	s_cbranch_execz .LBB3_219
	s_branch .LBB3_240
.LBB3_218:
.LBB3_219:
	s_and_saveexec_b64 s[2:3], s[0:1]
	s_cbranch_execz .LBB3_240
; %bb.220:
	s_lshl_b32 s12, -1, s34
	s_mov_b64 s[2:3], 0
	v_mov_b32_e32 v6, s20
	v_mov_b32_e32 v7, 0
	v_bfrev_b32_e32 v8, -2
	v_mov_b32_e32 v9, 0x7ff
	s_branch .LBB3_222
.LBB3_221:                              ;   in Loop: Header=BB3_222 Depth=1
	s_or_b64 exec, exec, s[0:1]
	v_add_u32_e32 v0, s54, v0
	v_cmp_le_i32_e32 vcc, s19, v0
	s_or_b64 s[2:3], vcc, s[2:3]
	s_andn2_b64 exec, exec, s[2:3]
	s_cbranch_execz .LBB3_240
.LBB3_222:                              ; =>This Inner Loop Header: Depth=1
	v_ashrrev_i32_e32 v1, 31, v0
	s_waitcnt vmcnt(0)
	v_lshlrev_b64 v[4:5], 2, v[0:1]
	v_add_co_u32_e32 v4, vcc, s18, v4
	v_addc_co_u32_e32 v5, vcc, v6, v5, vcc
	flat_load_dword v4, v[4:5]
	s_and_b64 vcc, exec, s[4:5]
	s_waitcnt vmcnt(0) lgkmcnt(0)
	v_cmp_gt_f32_e64 s[0:1], 0, v4
	s_cbranch_vccz .LBB3_224
; %bb.223:                              ;   in Loop: Header=BB3_222 Depth=1
	v_cndmask_b32_e64 v1, v8, 0, s[0:1]
	v_xor_b32_e32 v1, v1, v4
	v_and_b32_e32 v1, s12, v1
	s_cbranch_execz .LBB3_225
	s_branch .LBB3_226
.LBB3_224:                              ;   in Loop: Header=BB3_222 Depth=1
                                        ; implicit-def: $vgpr1
.LBB3_225:                              ;   in Loop: Header=BB3_222 Depth=1
	v_cndmask_b32_e64 v1, v9, 0, s[0:1]
	v_and_b32_e32 v4, 0x7ff, v4
	v_xor_b32_e32 v1, v1, v4
.LBB3_226:                              ;   in Loop: Header=BB3_222 Depth=1
	v_cmp_ge_u32_e32 vcc, v1, v3
	s_mov_b64 s[6:7], 0
                                        ; implicit-def: $vgpr4
	s_and_saveexec_b64 s[0:1], vcc
	s_xor_b64 s[0:1], exec, s[0:1]
	s_cbranch_execnz .LBB3_229
; %bb.227:                              ;   in Loop: Header=BB3_222 Depth=1
	s_andn2_saveexec_b64 s[0:1], s[0:1]
	s_cbranch_execnz .LBB3_236
.LBB3_228:                              ;   in Loop: Header=BB3_222 Depth=1
	s_or_b64 exec, exec, s[0:1]
	s_and_saveexec_b64 s[0:1], s[6:7]
	s_cbranch_execz .LBB3_221
	s_branch .LBB3_239
.LBB3_229:                              ;   in Loop: Header=BB3_222 Depth=1
	v_cmp_eq_u32_e32 vcc, v1, v3
	s_mov_b64 s[8:9], 0
                                        ; implicit-def: $vgpr4
	s_and_saveexec_b64 s[6:7], vcc
	s_cbranch_execz .LBB3_235
; %bb.230:                              ;   in Loop: Header=BB3_222 Depth=1
	s_mov_b64 s[10:11], exec
	v_mbcnt_lo_u32_b32 v1, s10, 0
	v_mbcnt_hi_u32_b32 v1, s11, v1
	v_cmp_eq_u32_e32 vcc, 0, v1
                                        ; implicit-def: $vgpr4
	s_and_saveexec_b64 s[8:9], vcc
	s_cbranch_execz .LBB3_232
; %bb.231:                              ;   in Loop: Header=BB3_222 Depth=1
	s_bcnt1_i32_b64 s10, s[10:11]
	v_mov_b32_e32 v4, s10
	ds_add_rtn_u32 v4, v7, v4 offset:512
.LBB3_232:                              ;   in Loop: Header=BB3_222 Depth=1
	s_or_b64 exec, exec, s[8:9]
	s_waitcnt lgkmcnt(0)
	v_readfirstlane_b32 s8, v4
	v_add_u32_e32 v1, s8, v1
	v_cmp_lt_i32_e32 vcc, v1, v2
	s_mov_b64 s[8:9], 0
                                        ; implicit-def: $vgpr4
	s_and_saveexec_b64 s[10:11], vcc
	s_xor_b64 s[10:11], exec, s[10:11]
; %bb.233:                              ;   in Loop: Header=BB3_222 Depth=1
	s_mov_b64 s[8:9], exec
	v_xad_u32 v4, v1, -1, s33
; %bb.234:                              ;   in Loop: Header=BB3_222 Depth=1
	s_or_b64 exec, exec, s[10:11]
	s_and_b64 s[8:9], s[8:9], exec
.LBB3_235:                              ;   in Loop: Header=BB3_222 Depth=1
	s_or_b64 exec, exec, s[6:7]
	s_and_b64 s[6:7], s[8:9], exec
	s_andn2_saveexec_b64 s[0:1], s[0:1]
	s_cbranch_execz .LBB3_228
.LBB3_236:                              ;   in Loop: Header=BB3_222 Depth=1
	s_mov_b64 s[10:11], exec
	v_mbcnt_lo_u32_b32 v1, s10, 0
	v_mbcnt_hi_u32_b32 v1, s11, v1
	v_cmp_eq_u32_e32 vcc, 0, v1
                                        ; implicit-def: $vgpr4
	s_and_saveexec_b64 s[8:9], vcc
	s_cbranch_execz .LBB3_238
; %bb.237:                              ;   in Loop: Header=BB3_222 Depth=1
	s_bcnt1_i32_b64 s10, s[10:11]
	v_mov_b32_e32 v4, s10
	ds_add_rtn_u32 v4, v7, v4 offset:384
.LBB3_238:                              ;   in Loop: Header=BB3_222 Depth=1
	s_or_b64 exec, exec, s[8:9]
	s_waitcnt lgkmcnt(0)
	v_readfirstlane_b32 s8, v4
	v_add_u32_e32 v4, s8, v1
	s_or_b64 s[6:7], s[6:7], exec
	s_or_b64 exec, exec, s[0:1]
	s_and_saveexec_b64 s[0:1], s[6:7]
	s_cbranch_execz .LBB3_221
.LBB3_239:                              ;   in Loop: Header=BB3_222 Depth=1
	v_ashrrev_i32_e32 v5, 31, v4
	v_lshlrev_b64 v[4:5], 2, v[4:5]
	v_mov_b32_e32 v1, s53
	v_add_co_u32_e32 v4, vcc, s52, v4
	v_addc_co_u32_e32 v5, vcc, v1, v5, vcc
	global_store_dword v[4:5], v0, off
	s_branch .LBB3_221
.LBB3_240:
	s_endpgm
	.section	.rodata,"a",@progbits
	.p2align	6, 0x0
	.amdhsa_kernel _Z27radix_topk_one_block_kernelIfiLi11ELi1024ELb0ELb0EL5Phase0EEvPKT_PKT0_lS6_S6_S4_PS1_PS4_bPci
		.amdhsa_group_segment_fixed_size 25540
		.amdhsa_private_segment_fixed_size 0
		.amdhsa_kernarg_size 344
		.amdhsa_user_sgpr_count 6
		.amdhsa_user_sgpr_private_segment_buffer 1
		.amdhsa_user_sgpr_dispatch_ptr 0
		.amdhsa_user_sgpr_queue_ptr 0
		.amdhsa_user_sgpr_kernarg_segment_ptr 1
		.amdhsa_user_sgpr_dispatch_id 0
		.amdhsa_user_sgpr_flat_scratch_init 0
		.amdhsa_user_sgpr_kernarg_preload_length 0
		.amdhsa_user_sgpr_kernarg_preload_offset 0
		.amdhsa_user_sgpr_private_segment_size 0
		.amdhsa_uses_dynamic_stack 0
		.amdhsa_system_sgpr_private_segment_wavefront_offset 0
		.amdhsa_system_sgpr_workgroup_id_x 1
		.amdhsa_system_sgpr_workgroup_id_y 0
		.amdhsa_system_sgpr_workgroup_id_z 0
		.amdhsa_system_sgpr_workgroup_info 0
		.amdhsa_system_vgpr_workitem_id 0
		.amdhsa_next_free_vgpr 42
		.amdhsa_next_free_sgpr 71
		.amdhsa_accum_offset 44
		.amdhsa_reserve_vcc 1
		.amdhsa_reserve_flat_scratch 0
		.amdhsa_float_round_mode_32 0
		.amdhsa_float_round_mode_16_64 0
		.amdhsa_float_denorm_mode_32 3
		.amdhsa_float_denorm_mode_16_64 3
		.amdhsa_dx10_clamp 1
		.amdhsa_ieee_mode 1
		.amdhsa_fp16_overflow 0
		.amdhsa_tg_split 0
		.amdhsa_exception_fp_ieee_invalid_op 0
		.amdhsa_exception_fp_denorm_src 0
		.amdhsa_exception_fp_ieee_div_zero 0
		.amdhsa_exception_fp_ieee_overflow 0
		.amdhsa_exception_fp_ieee_underflow 0
		.amdhsa_exception_fp_ieee_inexact 0
		.amdhsa_exception_int_div_zero 0
	.end_amdhsa_kernel
	.section	.text._Z27radix_topk_one_block_kernelIfiLi11ELi1024ELb0ELb0EL5Phase0EEvPKT_PKT0_lS6_S6_S4_PS1_PS4_bPci,"axG",@progbits,_Z27radix_topk_one_block_kernelIfiLi11ELi1024ELb0ELb0EL5Phase0EEvPKT_PKT0_lS6_S6_S4_PS1_PS4_bPci,comdat
.Lfunc_end3:
	.size	_Z27radix_topk_one_block_kernelIfiLi11ELi1024ELb0ELb0EL5Phase0EEvPKT_PKT0_lS6_S6_S4_PS1_PS4_bPci, .Lfunc_end3-_Z27radix_topk_one_block_kernelIfiLi11ELi1024ELb0ELb0EL5Phase0EEvPKT_PKT0_lS6_S6_S4_PS1_PS4_bPci
                                        ; -- End function
	.section	.AMDGPU.csdata,"",@progbits
; Kernel info:
; codeLenInByte = 8048
; NumSgprs: 75
; NumVgprs: 42
; NumAgprs: 0
; TotalNumVgprs: 42
; ScratchSize: 0
; MemoryBound: 0
; FloatMode: 240
; IeeeMode: 1
; LDSByteSize: 25540 bytes/workgroup (compile time only)
; SGPRBlocks: 9
; VGPRBlocks: 5
; NumSGPRsForWavesPerEU: 75
; NumVGPRsForWavesPerEU: 42
; AccumOffset: 44
; Occupancy: 8
; WaveLimiterHint : 0
; COMPUTE_PGM_RSRC2:SCRATCH_EN: 0
; COMPUTE_PGM_RSRC2:USER_SGPR: 6
; COMPUTE_PGM_RSRC2:TRAP_HANDLER: 0
; COMPUTE_PGM_RSRC2:TGID_X_EN: 1
; COMPUTE_PGM_RSRC2:TGID_Y_EN: 0
; COMPUTE_PGM_RSRC2:TGID_Z_EN: 0
; COMPUTE_PGM_RSRC2:TIDIG_COMP_CNT: 0
; COMPUTE_PGM_RSRC3_GFX90A:ACCUM_OFFSET: 10
; COMPUTE_PGM_RSRC3_GFX90A:TG_SPLIT: 0
	.text
	.p2alignl 6, 3212836864
	.fill 256, 4, 3212836864
	.type	__hip_cuid_4ce6d77b65780177,@object ; @__hip_cuid_4ce6d77b65780177
	.section	.bss,"aw",@nobits
	.globl	__hip_cuid_4ce6d77b65780177
__hip_cuid_4ce6d77b65780177:
	.byte	0                               ; 0x0
	.size	__hip_cuid_4ce6d77b65780177, 1

	.ident	"AMD clang version 19.0.0git (https://github.com/RadeonOpenCompute/llvm-project roc-6.4.0 25133 c7fe45cf4b819c5991fe208aaa96edf142730f1d)"
	.section	".note.GNU-stack","",@progbits
	.addrsig
	.addrsig_sym __hip_cuid_4ce6d77b65780177
	.amdgpu_metadata
---
amdhsa.kernels:
  - .agpr_count:     0
    .args:
      - .address_space:  global
        .offset:         0
        .size:           8
        .value_kind:     global_buffer
      - .offset:         8
        .size:           4
        .value_kind:     by_value
      - .offset:         12
        .size:           4
        .value_kind:     by_value
      - .offset:         16
        .size:           4
        .value_kind:     hidden_block_count_x
      - .offset:         20
        .size:           4
        .value_kind:     hidden_block_count_y
      - .offset:         24
        .size:           4
        .value_kind:     hidden_block_count_z
      - .offset:         28
        .size:           2
        .value_kind:     hidden_group_size_x
      - .offset:         30
        .size:           2
        .value_kind:     hidden_group_size_y
      - .offset:         32
        .size:           2
        .value_kind:     hidden_group_size_z
      - .offset:         34
        .size:           2
        .value_kind:     hidden_remainder_x
      - .offset:         36
        .size:           2
        .value_kind:     hidden_remainder_y
      - .offset:         38
        .size:           2
        .value_kind:     hidden_remainder_z
      - .offset:         56
        .size:           8
        .value_kind:     hidden_global_offset_x
      - .offset:         64
        .size:           8
        .value_kind:     hidden_global_offset_y
      - .offset:         72
        .size:           8
        .value_kind:     hidden_global_offset_z
      - .offset:         80
        .size:           2
        .value_kind:     hidden_grid_dims
    .group_segment_fixed_size: 0
    .kernarg_segment_align: 8
    .kernarg_segment_size: 272
    .language:       OpenCL C
    .language_version:
      - 2
      - 0
    .max_flat_workgroup_size: 1024
    .name:           _Z6init_xPfii
    .private_segment_fixed_size: 0
    .sgpr_count:     11
    .sgpr_spill_count: 0
    .symbol:         _Z6init_xPfii.kd
    .uniform_work_group_size: 1
    .uses_dynamic_stack: false
    .vgpr_count:     7
    .vgpr_spill_count: 0
    .wavefront_size: 64
  - .agpr_count:     0
    .args:
      - .address_space:  global
        .offset:         0
        .size:           8
        .value_kind:     global_buffer
      - .offset:         8
        .size:           4
        .value_kind:     by_value
      - .offset:         12
        .size:           4
        .value_kind:     by_value
      - .offset:         16
        .size:           4
        .value_kind:     by_value
    .group_segment_fixed_size: 0
    .kernarg_segment_align: 8
    .kernarg_segment_size: 20
    .language:       OpenCL C
    .language_version:
      - 2
      - 0
    .max_flat_workgroup_size: 1024
    .name:           _Z12shuffle_rowsPfiij
    .private_segment_fixed_size: 0
    .sgpr_count:     18
    .sgpr_spill_count: 0
    .symbol:         _Z12shuffle_rowsPfiij.kd
    .uniform_work_group_size: 1
    .uses_dynamic_stack: false
    .vgpr_count:     3
    .vgpr_spill_count: 0
    .wavefront_size: 64
  - .agpr_count:     0
    .args:
      - .address_space:  global
        .offset:         0
        .size:           8
        .value_kind:     global_buffer
      - .address_space:  global
        .offset:         8
        .size:           8
        .value_kind:     global_buffer
      - .offset:         16
        .size:           8
        .value_kind:     by_value
      - .address_space:  global
        .offset:         24
        .size:           8
        .value_kind:     global_buffer
      - .address_space:  global
        .offset:         32
        .size:           8
        .value_kind:     global_buffer
      - .offset:         40
        .size:           4
        .value_kind:     by_value
      - .address_space:  global
        .offset:         48
        .size:           8
        .value_kind:     global_buffer
      - .address_space:  global
        .offset:         56
        .size:           8
        .value_kind:     global_buffer
      - .offset:         64
        .size:           1
        .value_kind:     by_value
      - .address_space:  global
        .offset:         72
        .size:           8
        .value_kind:     global_buffer
      - .offset:         80
        .size:           4
        .value_kind:     by_value
      - .offset:         88
        .size:           4
        .value_kind:     hidden_block_count_x
      - .offset:         92
        .size:           4
        .value_kind:     hidden_block_count_y
      - .offset:         96
        .size:           4
        .value_kind:     hidden_block_count_z
      - .offset:         100
        .size:           2
        .value_kind:     hidden_group_size_x
      - .offset:         102
        .size:           2
        .value_kind:     hidden_group_size_y
      - .offset:         104
        .size:           2
        .value_kind:     hidden_group_size_z
      - .offset:         106
        .size:           2
        .value_kind:     hidden_remainder_x
      - .offset:         108
        .size:           2
        .value_kind:     hidden_remainder_y
      - .offset:         110
        .size:           2
        .value_kind:     hidden_remainder_z
      - .offset:         128
        .size:           8
        .value_kind:     hidden_global_offset_x
      - .offset:         136
        .size:           8
        .value_kind:     hidden_global_offset_y
      - .offset:         144
        .size:           8
        .value_kind:     hidden_global_offset_z
      - .offset:         152
        .size:           2
        .value_kind:     hidden_grid_dims
    .group_segment_fixed_size: 25540
    .kernarg_segment_align: 8
    .kernarg_segment_size: 344
    .language:       OpenCL C
    .language_version:
      - 2
      - 0
    .max_flat_workgroup_size: 1024
    .name:           _Z27radix_topk_one_block_kernelIfiLi11ELi1024ELb1ELb0EL5Phase0EEvPKT_PKT0_lS6_S6_S4_PS1_PS4_bPci
    .private_segment_fixed_size: 0
    .sgpr_count:     77
    .sgpr_spill_count: 0
    .symbol:         _Z27radix_topk_one_block_kernelIfiLi11ELi1024ELb1ELb0EL5Phase0EEvPKT_PKT0_lS6_S6_S4_PS1_PS4_bPci.kd
    .uniform_work_group_size: 1
    .uses_dynamic_stack: false
    .vgpr_count:     42
    .vgpr_spill_count: 0
    .wavefront_size: 64
  - .agpr_count:     0
    .args:
      - .address_space:  global
        .offset:         0
        .size:           8
        .value_kind:     global_buffer
      - .address_space:  global
        .offset:         8
        .size:           8
        .value_kind:     global_buffer
      - .offset:         16
        .size:           8
        .value_kind:     by_value
      - .address_space:  global
        .offset:         24
        .size:           8
        .value_kind:     global_buffer
      - .address_space:  global
        .offset:         32
        .size:           8
        .value_kind:     global_buffer
      - .offset:         40
        .size:           4
        .value_kind:     by_value
      - .address_space:  global
        .offset:         48
        .size:           8
        .value_kind:     global_buffer
      - .address_space:  global
        .offset:         56
        .size:           8
        .value_kind:     global_buffer
      - .offset:         64
        .size:           1
        .value_kind:     by_value
      - .address_space:  global
        .offset:         72
        .size:           8
        .value_kind:     global_buffer
      - .offset:         80
        .size:           4
        .value_kind:     by_value
      - .offset:         88
        .size:           4
        .value_kind:     hidden_block_count_x
      - .offset:         92
        .size:           4
        .value_kind:     hidden_block_count_y
      - .offset:         96
        .size:           4
        .value_kind:     hidden_block_count_z
      - .offset:         100
        .size:           2
        .value_kind:     hidden_group_size_x
      - .offset:         102
        .size:           2
        .value_kind:     hidden_group_size_y
      - .offset:         104
        .size:           2
        .value_kind:     hidden_group_size_z
      - .offset:         106
        .size:           2
        .value_kind:     hidden_remainder_x
      - .offset:         108
        .size:           2
        .value_kind:     hidden_remainder_y
      - .offset:         110
        .size:           2
        .value_kind:     hidden_remainder_z
      - .offset:         128
        .size:           8
        .value_kind:     hidden_global_offset_x
      - .offset:         136
        .size:           8
        .value_kind:     hidden_global_offset_y
      - .offset:         144
        .size:           8
        .value_kind:     hidden_global_offset_z
      - .offset:         152
        .size:           2
        .value_kind:     hidden_grid_dims
    .group_segment_fixed_size: 25540
    .kernarg_segment_align: 8
    .kernarg_segment_size: 344
    .language:       OpenCL C
    .language_version:
      - 2
      - 0
    .max_flat_workgroup_size: 1024
    .name:           _Z27radix_topk_one_block_kernelIfiLi11ELi1024ELb0ELb0EL5Phase0EEvPKT_PKT0_lS6_S6_S4_PS1_PS4_bPci
    .private_segment_fixed_size: 0
    .sgpr_count:     75
    .sgpr_spill_count: 0
    .symbol:         _Z27radix_topk_one_block_kernelIfiLi11ELi1024ELb0ELb0EL5Phase0EEvPKT_PKT0_lS6_S6_S4_PS1_PS4_bPci.kd
    .uniform_work_group_size: 1
    .uses_dynamic_stack: false
    .vgpr_count:     42
    .vgpr_spill_count: 0
    .wavefront_size: 64
amdhsa.target:   amdgcn-amd-amdhsa--gfx90a
amdhsa.version:
  - 1
  - 2
...

	.end_amdgpu_metadata
